;; amdgpu-corpus repo=ROCm/rocFFT kind=compiled arch=gfx906 opt=O3
	.text
	.amdgcn_target "amdgcn-amd-amdhsa--gfx906"
	.amdhsa_code_object_version 6
	.protected	bluestein_single_back_len910_dim1_dp_op_CI_CI ; -- Begin function bluestein_single_back_len910_dim1_dp_op_CI_CI
	.globl	bluestein_single_back_len910_dim1_dp_op_CI_CI
	.p2align	8
	.type	bluestein_single_back_len910_dim1_dp_op_CI_CI,@function
bluestein_single_back_len910_dim1_dp_op_CI_CI: ; @bluestein_single_back_len910_dim1_dp_op_CI_CI
; %bb.0:
	s_mov_b64 s[54:55], s[2:3]
	s_mov_b64 s[52:53], s[0:1]
	s_load_dwordx4 s[0:3], s[4:5], 0x28
	v_mul_u32_u24_e32 v1, 0x2d1, v0
	v_lshrrev_b32_e32 v1, 16, v1
	v_lshl_add_u32 v249, s6, 1, v1
	v_mov_b32_e32 v250, 0
	s_add_u32 s52, s52, s7
	s_waitcnt lgkmcnt(0)
	v_cmp_gt_u64_e32 vcc, s[0:1], v[249:250]
	s_addc_u32 s53, s53, 0
	s_and_saveexec_b64 s[0:1], vcc
	s_cbranch_execz .LBB0_23
; %bb.1:
	s_load_dwordx2 s[14:15], s[4:5], 0x0
	s_load_dwordx2 s[12:13], s[4:5], 0x38
	v_mul_lo_u16_e32 v2, 0x5b, v1
	v_sub_u16_e32 v250, v0, v2
	v_and_b32_e32 v0, 1, v1
	v_mov_b32_e32 v1, 0x38e
	v_cmp_eq_u32_e32 vcc, 1, v0
	v_cndmask_b32_e32 v205, 0, v1, vcc
	s_movk_i32 s0, 0x46
	v_cmp_gt_u16_e64 s[0:1], s0, v250
	v_lshlrev_b32_e32 v224, 4, v250
	v_lshlrev_b32_e32 v245, 4, v205
	s_and_saveexec_b64 s[6:7], s[0:1]
	s_cbranch_execz .LBB0_3
; %bb.2:
	s_load_dwordx2 s[8:9], s[4:5], 0x18
	s_waitcnt lgkmcnt(0)
	s_load_dwordx4 s[8:11], s[8:9], 0x0
	s_waitcnt lgkmcnt(0)
	v_mad_u64_u32 v[0:1], s[16:17], s10, v249, 0
	v_mad_u64_u32 v[2:3], s[16:17], s8, v250, 0
	;; [unrolled: 1-line block ×4, first 2 shown]
	v_mov_b32_e32 v1, v4
	v_lshlrev_b64 v[0:1], 4, v[0:1]
	v_mov_b32_e32 v3, v5
	v_mov_b32_e32 v6, s3
	v_lshlrev_b64 v[2:3], 4, v[2:3]
	v_add_co_u32_e32 v0, vcc, s2, v0
	v_addc_co_u32_e32 v1, vcc, v6, v1, vcc
	v_add_co_u32_e32 v16, vcc, v0, v2
	v_addc_co_u32_e32 v17, vcc, v1, v3, vcc
	v_mov_b32_e32 v0, s15
	v_add_co_u32_e32 v94, vcc, s14, v224
	s_mul_i32 s2, s9, 0x460
	s_mul_hi_u32 s3, s8, 0x460
	v_addc_co_u32_e32 v95, vcc, 0, v0, vcc
	s_add_i32 s2, s3, s2
	s_mul_i32 s3, s8, 0x460
	v_mov_b32_e32 v0, s2
	v_add_co_u32_e32 v18, vcc, s3, v16
	v_addc_co_u32_e32 v19, vcc, v17, v0, vcc
	global_load_dwordx4 v[0:3], v[16:17], off
	global_load_dwordx4 v[4:7], v[18:19], off
	global_load_dwordx4 v[8:11], v224, s[14:15]
	global_load_dwordx4 v[12:15], v224, s[14:15] offset:1120
	v_mov_b32_e32 v16, s2
	v_add_co_u32_e32 v32, vcc, s3, v18
	v_addc_co_u32_e32 v33, vcc, v19, v16, vcc
	v_add_co_u32_e32 v34, vcc, s3, v32
	v_addc_co_u32_e32 v35, vcc, v33, v16, vcc
	global_load_dwordx4 v[16:19], v[32:33], off
	global_load_dwordx4 v[20:23], v[34:35], off
	global_load_dwordx4 v[24:27], v224, s[14:15] offset:2240
	global_load_dwordx4 v[28:31], v224, s[14:15] offset:3360
	v_mov_b32_e32 v32, s2
	v_add_co_u32_e32 v36, vcc, s3, v34
	v_addc_co_u32_e32 v37, vcc, v35, v32, vcc
	s_movk_i32 s8, 0x1000
	v_add_co_u32_e32 v64, vcc, s8, v94
	v_addc_co_u32_e32 v65, vcc, 0, v95, vcc
	v_mov_b32_e32 v38, s2
	v_add_co_u32_e32 v48, vcc, s3, v36
	global_load_dwordx4 v[32:35], v[36:37], off
	v_addc_co_u32_e32 v49, vcc, v37, v38, vcc
	global_load_dwordx4 v[36:39], v[48:49], off
	global_load_dwordx4 v[40:43], v[64:65], off offset:384
	global_load_dwordx4 v[44:47], v[64:65], off offset:1504
	v_mov_b32_e32 v50, s2
	v_add_co_u32_e32 v52, vcc, s3, v48
	v_addc_co_u32_e32 v53, vcc, v49, v50, vcc
	v_mov_b32_e32 v54, s2
	v_add_co_u32_e32 v66, vcc, s3, v52
	v_addc_co_u32_e32 v67, vcc, v53, v54, vcc
	global_load_dwordx4 v[48:51], v[52:53], off
	s_nop 0
	global_load_dwordx4 v[52:55], v[66:67], off
	global_load_dwordx4 v[56:59], v[64:65], off offset:2624
	global_load_dwordx4 v[60:63], v[64:65], off offset:3744
	v_mov_b32_e32 v64, s2
	v_add_co_u32_e32 v68, vcc, s3, v66
	v_addc_co_u32_e32 v69, vcc, v67, v64, vcc
	s_movk_i32 s8, 0x2000
	v_add_co_u32_e32 v88, vcc, s8, v94
	v_addc_co_u32_e32 v89, vcc, 0, v95, vcc
	v_mov_b32_e32 v70, s2
	v_add_co_u32_e32 v80, vcc, s3, v68
	v_addc_co_u32_e32 v81, vcc, v69, v70, vcc
	v_mov_b32_e32 v82, s2
	v_add_co_u32_e32 v90, vcc, s3, v80
	v_addc_co_u32_e32 v91, vcc, v81, v82, vcc
	global_load_dwordx4 v[64:67], v[68:69], off
	s_nop 0
	global_load_dwordx4 v[68:71], v[80:81], off
	global_load_dwordx4 v[72:75], v[88:89], off offset:768
	global_load_dwordx4 v[76:79], v[88:89], off offset:1888
	s_nop 0
	global_load_dwordx4 v[80:83], v[90:91], off
	global_load_dwordx4 v[84:87], v[88:89], off offset:3008
	v_mov_b32_e32 v88, s2
	v_add_co_u32_e32 v92, vcc, s3, v90
	v_addc_co_u32_e32 v93, vcc, v91, v88, vcc
	s_movk_i32 s8, 0x3000
	v_add_co_u32_e32 v104, vcc, s8, v94
	v_addc_co_u32_e32 v105, vcc, 0, v95, vcc
	global_load_dwordx4 v[88:91], v[92:93], off
	v_mov_b32_e32 v94, s2
	v_add_co_u32_e32 v106, vcc, s3, v92
	v_addc_co_u32_e32 v107, vcc, v93, v94, vcc
	global_load_dwordx4 v[92:95], v[104:105], off offset:32
	global_load_dwordx4 v[96:99], v[106:107], off
	global_load_dwordx4 v[100:103], v[104:105], off offset:1152
	s_waitcnt vmcnt(23)
	v_mul_f64 v[104:105], v[2:3], v[10:11]
	v_mul_f64 v[10:11], v[0:1], v[10:11]
	v_fma_f64 v[0:1], v[0:1], v[8:9], v[104:105]
	v_fma_f64 v[2:3], v[2:3], v[8:9], -v[10:11]
	s_waitcnt vmcnt(22)
	v_mul_f64 v[8:9], v[6:7], v[14:15]
	v_mul_f64 v[10:11], v[4:5], v[14:15]
	s_waitcnt vmcnt(19)
	v_mul_f64 v[14:15], v[18:19], v[26:27]
	v_mul_f64 v[26:27], v[16:17], v[26:27]
	;; [unrolled: 3-line block ×3, first 2 shown]
	v_fma_f64 v[4:5], v[4:5], v[12:13], v[8:9]
	v_fma_f64 v[6:7], v[6:7], v[12:13], -v[10:11]
	v_fma_f64 v[8:9], v[16:17], v[24:25], v[14:15]
	v_fma_f64 v[10:11], v[18:19], v[24:25], -v[26:27]
	;; [unrolled: 2-line block ×3, first 2 shown]
	v_lshl_add_u32 v20, v250, 4, v245
	ds_write_b128 v20, v[0:3]
	s_waitcnt vmcnt(15)
	v_mul_f64 v[106:107], v[34:35], v[42:43]
	v_mul_f64 v[42:43], v[32:33], v[42:43]
	s_waitcnt vmcnt(14)
	v_mul_f64 v[0:1], v[38:39], v[46:47]
	v_mul_f64 v[2:3], v[36:37], v[46:47]
	v_fma_f64 v[16:17], v[32:33], v[40:41], v[106:107]
	v_fma_f64 v[18:19], v[34:35], v[40:41], -v[42:43]
	v_add_u32_e32 v32, v245, v224
	ds_write_b128 v32, v[4:7] offset:1120
	ds_write_b128 v32, v[8:11] offset:2240
	;; [unrolled: 1-line block ×4, first 2 shown]
	s_waitcnt vmcnt(11)
	v_mul_f64 v[4:5], v[50:51], v[58:59]
	v_mul_f64 v[6:7], v[48:49], v[58:59]
	s_waitcnt vmcnt(10)
	v_mul_f64 v[8:9], v[54:55], v[62:63]
	v_mul_f64 v[10:11], v[52:53], v[62:63]
	v_fma_f64 v[0:1], v[36:37], v[44:45], v[0:1]
	v_fma_f64 v[2:3], v[38:39], v[44:45], -v[2:3]
	v_fma_f64 v[4:5], v[48:49], v[56:57], v[4:5]
	v_fma_f64 v[6:7], v[50:51], v[56:57], -v[6:7]
	;; [unrolled: 2-line block ×3, first 2 shown]
	s_waitcnt vmcnt(7)
	v_mul_f64 v[12:13], v[66:67], v[74:75]
	v_mul_f64 v[14:15], v[64:65], v[74:75]
	s_waitcnt vmcnt(6)
	v_mul_f64 v[16:17], v[70:71], v[78:79]
	v_mul_f64 v[18:19], v[68:69], v[78:79]
	;; [unrolled: 3-line block ×3, first 2 shown]
	v_fma_f64 v[12:13], v[64:65], v[72:73], v[12:13]
	v_fma_f64 v[14:15], v[66:67], v[72:73], -v[14:15]
	v_fma_f64 v[16:17], v[68:69], v[76:77], v[16:17]
	v_fma_f64 v[18:19], v[70:71], v[76:77], -v[18:19]
	;; [unrolled: 2-line block ×3, first 2 shown]
	s_waitcnt vmcnt(2)
	v_mul_f64 v[24:25], v[90:91], v[94:95]
	v_mul_f64 v[26:27], v[88:89], v[94:95]
	s_waitcnt vmcnt(0)
	v_mul_f64 v[28:29], v[98:99], v[102:103]
	v_mul_f64 v[30:31], v[96:97], v[102:103]
	v_fma_f64 v[24:25], v[88:89], v[92:93], v[24:25]
	v_fma_f64 v[26:27], v[90:91], v[92:93], -v[26:27]
	v_fma_f64 v[28:29], v[96:97], v[100:101], v[28:29]
	v_fma_f64 v[30:31], v[98:99], v[100:101], -v[30:31]
	ds_write_b128 v32, v[0:3] offset:5600
	ds_write_b128 v32, v[4:7] offset:6720
	;; [unrolled: 1-line block ×8, first 2 shown]
.LBB0_3:
	s_or_b64 exec, exec, s[6:7]
	s_load_dwordx2 s[2:3], s[4:5], 0x20
	s_load_dwordx2 s[8:9], s[4:5], 0x8
	s_waitcnt lgkmcnt(0)
	s_barrier
	s_waitcnt lgkmcnt(0)
                                        ; implicit-def: $vgpr0_vgpr1
                                        ; implicit-def: $vgpr4_vgpr5
                                        ; implicit-def: $vgpr8_vgpr9
                                        ; implicit-def: $vgpr12_vgpr13
                                        ; implicit-def: $vgpr16_vgpr17
                                        ; implicit-def: $vgpr20_vgpr21
                                        ; implicit-def: $vgpr24_vgpr25
                                        ; implicit-def: $vgpr28_vgpr29
                                        ; implicit-def: $vgpr32_vgpr33
                                        ; implicit-def: $vgpr36_vgpr37
                                        ; implicit-def: $vgpr40_vgpr41
                                        ; implicit-def: $vgpr44_vgpr45
                                        ; implicit-def: $vgpr48_vgpr49
	s_and_saveexec_b64 s[4:5], s[0:1]
	s_cbranch_execz .LBB0_5
; %bb.4:
	v_lshl_add_u32 v48, v205, 4, v224
	ds_read_b128 v[0:3], v48
	ds_read_b128 v[4:7], v48 offset:1120
	ds_read_b128 v[8:11], v48 offset:2240
	;; [unrolled: 1-line block ×12, first 2 shown]
.LBB0_5:
	s_or_b64 exec, exec, s[4:5]
	s_waitcnt lgkmcnt(0)
	v_add_f64 v[104:105], v[6:7], -v[50:51]
	v_add_f64 v[94:95], v[4:5], -v[48:49]
	s_mov_b32 s18, 0x4267c47c
	s_mov_b32 s19, 0xbfddbe06
	v_add_f64 v[86:87], v[4:5], v[48:49]
	v_add_f64 v[116:117], v[6:7], v[50:51]
	v_add_f64 v[122:123], v[10:11], -v[46:47]
	v_add_f64 v[108:109], v[8:9], -v[44:45]
	v_mul_f64 v[56:57], v[104:105], s[18:19]
	v_mul_f64 v[58:59], v[94:95], s[18:19]
	s_mov_b32 s6, 0xe00740e9
	s_mov_b32 s16, 0x42a4c3d2
	;; [unrolled: 1-line block ×4, first 2 shown]
	v_add_f64 v[96:97], v[8:9], v[44:45]
	v_add_f64 v[134:135], v[10:11], v[46:47]
	v_fma_f64 v[52:53], v[86:87], s[6:7], v[56:57]
	v_fma_f64 v[54:55], v[116:117], s[6:7], -v[58:59]
	v_mul_f64 v[60:61], v[122:123], s[16:17]
	v_mul_f64 v[62:63], v[108:109], s[16:17]
	v_add_f64 v[154:155], v[14:15], -v[42:43]
	v_add_f64 v[120:121], v[12:13], -v[40:41]
	s_mov_b32 s4, 0x1ea71119
	s_mov_b32 s22, 0x66966769
	;; [unrolled: 1-line block ×4, first 2 shown]
	v_add_f64 v[52:53], v[0:1], v[52:53]
	v_add_f64 v[54:55], v[2:3], v[54:55]
	v_fma_f64 v[68:69], v[96:97], s[4:5], v[60:61]
	v_fma_f64 v[70:71], v[134:135], s[4:5], -v[62:63]
	v_add_f64 v[106:107], v[12:13], v[40:41]
	v_add_f64 v[126:127], v[14:15], v[42:43]
	v_mul_f64 v[64:65], v[154:155], s[22:23]
	v_mul_f64 v[66:67], v[120:121], s[22:23]
	v_add_f64 v[150:151], v[18:19], -v[38:39]
	v_add_f64 v[128:129], v[16:17], -v[36:37]
	s_mov_b32 s10, 0xebaa3ed8
	s_mov_b32 s28, 0x2ef20147
	s_mov_b32 s11, 0x3fbedb7d
	s_mov_b32 s29, 0xbfedeba7
	v_add_f64 v[52:53], v[68:69], v[52:53]
	v_add_f64 v[54:55], v[70:71], v[54:55]
	v_fma_f64 v[68:69], v[106:107], s[10:11], v[64:65]
	v_add_f64 v[114:115], v[16:17], v[36:37]
	v_mul_f64 v[80:81], v[150:151], s[28:29]
	v_fma_f64 v[70:71], v[126:127], s[10:11], -v[66:67]
	v_add_f64 v[130:131], v[18:19], v[38:39]
	v_mul_f64 v[82:83], v[128:129], s[28:29]
	v_add_f64 v[144:145], v[22:23], -v[34:35]
	v_add_f64 v[170:171], v[20:21], -v[32:33]
	s_mov_b32 s24, 0xb2365da1
	s_mov_b32 s34, 0x24c2f84
	;; [unrolled: 1-line block ×6, first 2 shown]
	v_add_f64 v[52:53], v[68:69], v[52:53]
	v_fma_f64 v[68:69], v[114:115], s[24:25], v[80:81]
	v_add_f64 v[136:137], v[20:21], v[32:33]
	v_mul_f64 v[84:85], v[144:145], s[38:39]
	v_add_f64 v[54:55], v[70:71], v[54:55]
	v_fma_f64 v[70:71], v[130:131], s[24:25], -v[82:83]
	v_add_f64 v[160:161], v[22:23], v[34:35]
	v_mul_f64 v[88:89], v[170:171], s[38:39]
	s_mov_b32 s26, 0xd0032e0c
	s_mov_b32 s27, 0xbfe7f3cc
	v_add_f64 v[52:53], v[68:69], v[52:53]
	v_fma_f64 v[68:69], v[136:137], s[26:27], v[84:85]
	v_mul_f64 v[98:99], v[104:105], s[16:17]
	v_add_f64 v[54:55], v[70:71], v[54:55]
	v_mul_f64 v[148:149], v[94:95], s[16:17]
	v_fma_f64 v[70:71], v[160:161], s[26:27], -v[88:89]
	v_mul_f64 v[100:101], v[122:123], s[28:29]
	v_mul_f64 v[112:113], v[108:109], s[28:29]
	s_mov_b32 s36, 0x4bc48dbf
	v_add_f64 v[52:53], v[68:69], v[52:53]
	v_fma_f64 v[68:69], v[86:87], s[4:5], v[98:99]
	s_mov_b32 s37, 0xbfcea1e5
	v_mul_f64 v[102:103], v[154:155], s[36:37]
	v_add_f64 v[54:55], v[70:71], v[54:55]
	v_fma_f64 v[70:71], v[116:117], s[4:5], -v[148:149]
	v_fma_f64 v[72:73], v[96:97], s[24:25], v[100:101]
	v_fma_f64 v[74:75], v[134:135], s[24:25], -v[112:113]
	v_mul_f64 v[118:119], v[120:121], s[36:37]
	v_add_f64 v[68:69], v[0:1], v[68:69]
	v_mul_f64 v[140:141], v[104:105], s[22:23]
	v_mul_f64 v[201:202], v[94:95], s[22:23]
	s_mov_b32 s30, 0x93053d00
	v_add_f64 v[70:71], v[2:3], v[70:71]
	s_mov_b32 s31, 0xbfef11f4
	v_mul_f64 v[110:111], v[150:151], s[34:35]
	v_mul_f64 v[138:139], v[128:129], s[34:35]
	v_add_f64 v[68:69], v[72:73], v[68:69]
	v_fma_f64 v[72:73], v[106:107], s[30:31], v[102:103]
	v_fma_f64 v[124:125], v[86:87], s[10:11], v[140:141]
	v_mul_f64 v[142:143], v[122:123], s[36:37]
	v_add_f64 v[70:71], v[74:75], v[70:71]
	v_fma_f64 v[74:75], v[126:127], s[30:31], -v[118:119]
	v_fma_f64 v[132:133], v[116:117], s[10:11], -v[201:202]
	v_mul_f64 v[199:200], v[108:109], s[36:37]
	s_mov_b32 s45, 0x3fedeba7
	s_mov_b32 s44, s28
	v_add_f64 v[68:69], v[72:73], v[68:69]
	v_fma_f64 v[72:73], v[114:115], s[26:27], v[110:111]
	v_add_f64 v[124:125], v[0:1], v[124:125]
	v_add_f64 v[70:71], v[74:75], v[70:71]
	v_fma_f64 v[74:75], v[130:131], s[26:27], -v[138:139]
	v_fma_f64 v[152:153], v[96:97], s[30:31], v[142:143]
	v_add_f64 v[132:133], v[2:3], v[132:133]
	v_fma_f64 v[156:157], v[134:135], s[30:31], -v[199:200]
	v_mul_f64 v[146:147], v[154:155], s[44:45]
	v_mul_f64 v[164:165], v[120:121], s[44:45]
	s_mov_b32 s41, 0x3fddbe06
	s_mov_b32 s40, s18
	v_add_f64 v[68:69], v[72:73], v[68:69]
	v_add_f64 v[70:71], v[74:75], v[70:71]
	;; [unrolled: 1-line block ×4, first 2 shown]
	v_fma_f64 v[132:133], v[106:107], s[24:25], v[146:147]
	v_fma_f64 v[158:159], v[126:127], s[24:25], -v[164:165]
	v_mul_f64 v[152:153], v[150:151], s[40:41]
	v_mul_f64 v[168:169], v[128:129], s[40:41]
	s_mov_b32 s43, 0x3fefc445
	s_mov_b32 s42, s22
	v_add_f64 v[182:183], v[26:27], -v[30:31]
	v_add_f64 v[189:190], v[24:25], -v[28:29]
	v_mul_f64 v[124:125], v[144:145], s[42:43]
	v_mul_f64 v[156:157], v[170:171], s[42:43]
	v_add_f64 v[72:73], v[132:133], v[72:73]
	v_add_f64 v[74:75], v[158:159], v[74:75]
	v_fma_f64 v[166:167], v[114:115], s[6:7], v[152:153]
	v_fma_f64 v[174:175], v[130:131], s[6:7], -v[168:169]
	v_mul_f64 v[158:159], v[144:145], s[16:17]
	v_mul_f64 v[172:173], v[170:171], s[16:17]
	v_add_f64 v[176:177], v[24:25], v[28:29]
	v_mul_f64 v[90:91], v[182:183], s[36:37]
	v_add_f64 v[184:185], v[26:27], v[30:31]
	v_mul_f64 v[92:93], v[189:190], s[36:37]
	v_fma_f64 v[178:179], v[136:137], s[10:11], v[124:125]
	v_fma_f64 v[180:181], v[160:161], s[10:11], -v[156:157]
	v_mul_f64 v[132:133], v[182:183], s[40:41]
	v_mul_f64 v[162:163], v[189:190], s[40:41]
	v_add_f64 v[72:73], v[166:167], v[72:73]
	v_add_f64 v[74:75], v[174:175], v[74:75]
	v_fma_f64 v[186:187], v[136:137], s[4:5], v[158:159]
	v_fma_f64 v[191:192], v[160:161], s[4:5], -v[172:173]
	v_mul_f64 v[166:167], v[182:183], s[38:39]
	v_mul_f64 v[174:175], v[189:190], s[38:39]
	v_fma_f64 v[76:77], v[176:177], s[30:31], v[90:91]
	v_fma_f64 v[78:79], v[184:185], s[30:31], -v[92:93]
	v_add_f64 v[68:69], v[178:179], v[68:69]
	v_add_f64 v[70:71], v[180:181], v[70:71]
	v_fma_f64 v[178:179], v[176:177], s[6:7], v[132:133]
	v_fma_f64 v[180:181], v[184:185], s[6:7], -v[162:163]
	v_add_f64 v[186:187], v[186:187], v[72:73]
	v_add_f64 v[191:192], v[191:192], v[74:75]
	;; [unrolled: 4-line block ×3, first 2 shown]
	v_add_f64 v[72:73], v[178:179], v[68:69]
	v_add_f64 v[74:75], v[180:181], v[70:71]
	v_mul_lo_u16_e32 v52, 13, v250
	v_add_f64 v[68:69], v[193:194], v[186:187]
	v_add_f64 v[70:71], v[195:196], v[191:192]
	s_barrier
	buffer_store_dword v52, off, s[52:55], 0 offset:8 ; 4-byte Folded Spill
	s_and_saveexec_b64 s[20:21], s[0:1]
	s_cbranch_execz .LBB0_7
; %bb.6:
	v_mul_f64 v[52:53], v[116:117], s[30:31]
	s_mov_b32 s47, 0x3fcea1e5
	s_mov_b32 s46, s36
	v_mul_f64 v[54:55], v[134:135], s[6:7]
	v_mul_f64 v[210:211], v[104:105], s[36:37]
	;; [unrolled: 1-line block ×3, first 2 shown]
	v_mov_b32_e32 v248, v224
	v_mul_f64 v[224:225], v[122:123], s[40:41]
	v_fma_f64 v[206:207], v[94:95], s[46:47], v[52:53]
	v_mul_f64 v[214:215], v[130:131], s[4:5]
	v_mul_f64 v[236:237], v[154:155], s[38:39]
	v_fma_f64 v[222:223], v[108:109], s[18:19], v[54:55]
	v_fma_f64 v[228:229], v[86:87], s[30:31], v[210:211]
	;; [unrolled: 1-line block ×4, first 2 shown]
	v_fma_f64 v[210:211], v[86:87], s[30:31], -v[210:211]
	v_add_f64 v[206:207], v[2:3], v[206:207]
	s_mov_b32 s49, 0x3fea55e2
	s_mov_b32 s48, s16
	v_mul_f64 v[212:213], v[160:161], s[24:25]
	v_add_f64 v[228:229], v[0:1], v[228:229]
	v_fma_f64 v[232:233], v[128:129], s[16:17], v[214:215]
	v_mul_f64 v[238:239], v[150:151], s[48:49]
	v_fma_f64 v[240:241], v[106:107], s[26:27], v[236:237]
	v_add_f64 v[206:207], v[222:223], v[206:207]
	v_fma_f64 v[222:223], v[96:97], s[6:7], v[224:225]
	v_fma_f64 v[54:55], v[108:109], s[40:41], v[54:55]
	v_add_f64 v[52:53], v[2:3], v[52:53]
	v_fma_f64 v[224:225], v[96:97], s[6:7], -v[224:225]
	v_add_f64 v[210:211], v[0:1], v[210:211]
	v_mul_f64 v[208:209], v[184:185], s[10:11]
	v_fma_f64 v[230:231], v[170:171], s[44:45], v[212:213]
	v_add_f64 v[206:207], v[234:235], v[206:207]
	v_add_f64 v[222:223], v[222:223], v[228:229]
	v_mul_f64 v[228:229], v[144:145], s[28:29]
	v_fma_f64 v[234:235], v[114:115], s[4:5], v[238:239]
	v_fma_f64 v[216:217], v[120:121], s[38:39], v[216:217]
	v_add_f64 v[52:53], v[54:55], v[52:53]
	v_fma_f64 v[236:237], v[106:107], s[26:27], -v[236:237]
	v_add_f64 v[210:211], v[224:225], v[210:211]
	v_add_f64 v[206:207], v[232:233], v[206:207]
	;; [unrolled: 1-line block ×3, first 2 shown]
	v_fma_f64 v[226:227], v[189:190], s[22:23], v[208:209]
	v_mul_f64 v[222:223], v[182:183], s[42:43]
	v_fma_f64 v[232:233], v[136:137], s[24:25], v[228:229]
	v_fma_f64 v[214:215], v[128:129], s[48:49], v[214:215]
	v_add_f64 v[52:53], v[216:217], v[52:53]
	v_add_f64 v[210:211], v[236:237], v[210:211]
	;; [unrolled: 1-line block ×4, first 2 shown]
	v_fma_f64 v[230:231], v[114:115], s[4:5], -v[238:239]
	v_fma_f64 v[216:217], v[176:177], s[10:11], v[222:223]
	v_fma_f64 v[212:213], v[170:171], s[28:29], v[212:213]
	v_fma_f64 v[222:223], v[176:177], s[10:11], -v[222:223]
	v_add_f64 v[52:53], v[214:215], v[52:53]
	v_mul_f64 v[236:237], v[154:155], s[16:17]
	v_mul_f64 v[186:187], v[116:117], s[6:7]
	v_add_f64 v[214:215], v[232:233], v[54:55]
	v_add_f64 v[54:55], v[226:227], v[206:207]
	v_mul_f64 v[226:227], v[116:117], s[26:27]
	v_fma_f64 v[206:207], v[189:190], s[42:43], v[208:209]
	v_fma_f64 v[208:209], v[136:137], s[24:25], -v[228:229]
	v_mul_f64 v[228:229], v[104:105], s[38:39]
	v_add_f64 v[210:211], v[230:231], v[210:211]
	v_add_f64 v[212:213], v[212:213], v[52:53]
	;; [unrolled: 1-line block ×3, first 2 shown]
	v_mul_f64 v[214:215], v[134:135], s[10:11]
	v_fma_f64 v[216:217], v[94:95], s[34:35], v[226:227]
	v_mul_f64 v[230:231], v[122:123], s[42:43]
	v_fma_f64 v[240:241], v[106:107], s[4:5], v[236:237]
	v_fma_f64 v[232:233], v[86:87], s[26:27], v[228:229]
	v_add_f64 v[210:211], v[208:209], v[210:211]
	v_add_f64 v[208:209], v[206:207], v[212:213]
	v_mul_f64 v[212:213], v[126:127], s[4:5]
	v_fma_f64 v[234:235], v[108:109], s[22:23], v[214:215]
	v_add_f64 v[216:217], v[2:3], v[216:217]
	v_fma_f64 v[238:239], v[96:97], s[10:11], v[230:231]
	v_fma_f64 v[214:215], v[108:109], s[42:43], v[214:215]
	v_add_f64 v[232:233], v[0:1], v[232:233]
	v_add_f64 v[206:207], v[222:223], v[210:211]
	v_fma_f64 v[222:223], v[94:95], s[38:39], v[226:227]
	v_mul_f64 v[210:211], v[130:131], s[30:31]
	v_fma_f64 v[226:227], v[120:121], s[48:49], v[212:213]
	v_add_f64 v[216:217], v[234:235], v[216:217]
	v_fma_f64 v[228:229], v[86:87], s[26:27], -v[228:229]
	v_mul_f64 v[234:235], v[160:161], s[6:7]
	v_add_f64 v[232:233], v[238:239], v[232:233]
	v_mul_f64 v[238:239], v[150:151], s[46:47]
	v_add_f64 v[222:223], v[2:3], v[222:223]
	v_fma_f64 v[242:243], v[128:129], s[36:37], v[210:211]
	v_fma_f64 v[212:213], v[120:121], s[16:17], v[212:213]
	v_add_f64 v[216:217], v[226:227], v[216:217]
	v_mul_f64 v[226:227], v[144:145], s[40:41]
	v_fma_f64 v[230:231], v[96:97], s[10:11], -v[230:231]
	v_add_f64 v[232:233], v[240:241], v[232:233]
	v_fma_f64 v[240:241], v[114:115], s[30:31], v[238:239]
	v_add_f64 v[214:215], v[214:215], v[222:223]
	v_add_f64 v[228:229], v[0:1], v[228:229]
	v_mul_f64 v[222:223], v[184:185], s[24:25]
	v_add_f64 v[216:217], v[242:243], v[216:217]
	v_fma_f64 v[242:243], v[170:171], s[18:19], v[234:235]
	v_fma_f64 v[236:237], v[106:107], s[4:5], -v[236:237]
	v_mul_f64 v[218:219], v[116:117], s[4:5]
	v_add_f64 v[232:233], v[240:241], v[232:233]
	v_fma_f64 v[240:241], v[136:137], s[6:7], v[226:227]
	v_add_f64 v[212:213], v[212:213], v[214:215]
	v_mul_f64 v[214:215], v[182:183], s[28:29]
	v_add_f64 v[228:229], v[230:231], v[228:229]
	v_mul_f64 v[220:221], v[116:117], s[10:11]
	v_fma_f64 v[210:211], v[128:129], s[46:47], v[210:211]
	v_add_f64 v[216:217], v[242:243], v[216:217]
	v_fma_f64 v[242:243], v[189:190], s[44:45], v[222:223]
	v_add_f64 v[232:233], v[240:241], v[232:233]
	v_mul_f64 v[116:117], v[116:117], s[24:25]
	v_fma_f64 v[240:241], v[176:177], s[24:25], v[214:215]
	v_add_f64 v[228:229], v[236:237], v[228:229]
	v_fma_f64 v[236:237], v[114:115], s[30:31], -v[238:239]
	v_mul_f64 v[195:196], v[134:135], s[4:5]
	v_mul_f64 v[203:204], v[134:135], s[24:25]
	;; [unrolled: 1-line block ×3, first 2 shown]
	v_mov_b32_e32 v188, v245
	v_add_f64 v[244:245], v[210:211], v[212:213]
	v_add_f64 v[212:213], v[242:243], v[216:217]
	v_fma_f64 v[216:217], v[170:171], s[40:41], v[234:235]
	v_add_f64 v[210:211], v[240:241], v[232:233]
	v_mul_f64 v[104:105], v[104:105], s[28:29]
	v_fma_f64 v[226:227], v[136:137], s[6:7], -v[226:227]
	v_add_f64 v[228:229], v[236:237], v[228:229]
	v_mul_f64 v[134:135], v[134:135], s[26:27]
	v_fma_f64 v[232:233], v[94:95], s[44:45], v[116:117]
	v_fma_f64 v[222:223], v[189:190], s[28:29], v[222:223]
	v_add_f64 v[216:217], v[216:217], v[244:245]
	v_mul_f64 v[122:123], v[122:123], s[34:35]
	v_fma_f64 v[234:235], v[86:87], s[24:25], v[104:105]
	v_mul_f64 v[236:237], v[126:127], s[6:7]
	v_add_f64 v[226:227], v[226:227], v[228:229]
	v_fma_f64 v[228:229], v[108:109], s[38:39], v[134:135]
	v_add_f64 v[232:233], v[2:3], v[232:233]
	v_fma_f64 v[94:95], v[94:95], s[28:29], v[116:117]
	v_add_f64 v[216:217], v[222:223], v[216:217]
	v_mul_f64 v[154:155], v[154:155], s[40:41]
	v_fma_f64 v[222:223], v[96:97], s[26:27], v[122:123]
	v_add_f64 v[234:235], v[0:1], v[234:235]
	v_fma_f64 v[116:117], v[120:121], s[18:19], v[236:237]
	v_fma_f64 v[108:109], v[108:109], s[34:35], v[134:135]
	v_add_f64 v[228:229], v[228:229], v[232:233]
	v_mul_f64 v[232:233], v[130:131], s[10:11]
	v_add_f64 v[94:95], v[2:3], v[94:95]
	v_mul_f64 v[178:179], v[86:87], s[6:7]
	v_mul_f64 v[180:181], v[86:87], s[4:5]
	;; [unrolled: 1-line block ×3, first 2 shown]
	v_add_f64 v[222:223], v[222:223], v[234:235]
	v_fma_f64 v[234:235], v[106:107], s[6:7], v[154:155]
	v_mul_f64 v[150:151], v[150:151], s[22:23]
	v_add_f64 v[116:117], v[116:117], v[228:229]
	v_fma_f64 v[228:229], v[128:129], s[42:43], v[232:233]
	v_fma_f64 v[120:121], v[120:121], s[40:41], v[236:237]
	v_add_f64 v[94:95], v[108:109], v[94:95]
	v_fma_f64 v[86:87], v[86:87], s[24:25], -v[104:105]
	v_mul_f64 v[193:194], v[96:97], s[4:5]
	v_mul_f64 v[197:198], v[96:97], s[24:25]
	;; [unrolled: 1-line block ×3, first 2 shown]
	v_fma_f64 v[214:215], v[176:177], s[24:25], -v[214:215]
	v_add_f64 v[222:223], v[234:235], v[222:223]
	v_fma_f64 v[108:109], v[114:115], s[10:11], v[150:151]
	v_add_f64 v[116:117], v[228:229], v[116:117]
	v_mul_f64 v[228:229], v[160:161], s[30:31]
	v_fma_f64 v[128:129], v[128:129], s[22:23], v[232:233]
	v_add_f64 v[94:95], v[120:121], v[94:95]
	v_fma_f64 v[96:97], v[96:97], s[26:27], -v[122:123]
	v_add_f64 v[86:87], v[0:1], v[86:87]
	v_mul_f64 v[246:247], v[106:107], s[10:11]
	v_add_f64 v[214:215], v[214:215], v[226:227]
	v_mul_f64 v[226:227], v[106:107], s[30:31]
	v_mul_f64 v[134:135], v[106:107], s[24:25]
	v_add_f64 v[108:109], v[108:109], v[222:223]
	v_fma_f64 v[222:223], v[170:171], s[36:37], v[228:229]
	v_fma_f64 v[170:171], v[170:171], s[46:47], v[228:229]
	v_mul_f64 v[122:123], v[184:185], s[4:5]
	v_add_f64 v[94:95], v[128:129], v[94:95]
	v_fma_f64 v[106:107], v[106:107], s[6:7], -v[154:155]
	v_add_f64 v[86:87], v[96:97], v[86:87]
	v_mul_f64 v[234:235], v[114:115], s[24:25]
	v_mul_f64 v[104:105], v[114:115], s[26:27]
	;; [unrolled: 1-line block ×4, first 2 shown]
	v_fma_f64 v[96:97], v[189:190], s[16:17], v[122:123]
	v_fma_f64 v[122:123], v[189:190], s[48:49], v[122:123]
	v_add_f64 v[94:95], v[170:171], v[94:95]
	v_fma_f64 v[114:115], v[114:115], s[10:11], -v[150:151]
	v_add_f64 v[86:87], v[106:107], v[86:87]
	v_add_f64 v[201:202], v[201:202], v[220:221]
	;; [unrolled: 1-line block ×4, first 2 shown]
	v_mul_f64 v[238:239], v[126:127], s[10:11]
	v_mul_f64 v[240:241], v[126:127], s[30:31]
	v_mul_f64 v[126:127], v[126:127], s[24:25]
	v_mul_f64 v[228:229], v[136:137], s[26:27]
	v_mul_f64 v[154:155], v[136:137], s[10:11]
	v_mul_f64 v[170:171], v[136:137], s[4:5]
	v_fma_f64 v[150:151], v[136:137], s[30:31], v[144:145]
	v_fma_f64 v[136:137], v[136:137], s[30:31], -v[144:145]
	v_add_f64 v[114:115], v[114:115], v[86:87]
	v_add_f64 v[86:87], v[122:123], v[94:95]
	;; [unrolled: 1-line block ×7, first 2 shown]
	v_mul_f64 v[236:237], v[130:131], s[24:25]
	v_mul_f64 v[232:233], v[130:131], s[26:27]
	;; [unrolled: 1-line block ×3, first 2 shown]
	v_add_f64 v[114:115], v[136:137], v[114:115]
	v_add_f64 v[126:127], v[164:165], v[126:127]
	v_add_f64 v[136:137], v[191:192], -v[140:141]
	v_add_f64 v[94:95], v[94:95], v[122:123]
	v_add_f64 v[112:113], v[112:113], v[203:204]
	;; [unrolled: 1-line block ×5, first 2 shown]
	v_mov_b32_e32 v245, v188
	v_mul_f64 v[128:129], v[160:161], s[26:27]
	v_mul_f64 v[188:189], v[160:161], s[10:11]
	v_mul_f64 v[160:161], v[160:161], s[4:5]
	v_add_f64 v[8:9], v[168:169], v[130:131]
	v_add_f64 v[10:11], v[224:225], -v[142:143]
	v_add_f64 v[130:131], v[0:1], v[136:137]
	v_add_f64 v[94:95], v[126:127], v[94:95]
	v_add_f64 v[118:119], v[118:119], v[240:241]
	v_add_f64 v[112:113], v[112:113], v[122:123]
	v_add_f64 v[6:7], v[6:7], v[18:19]
	v_add_f64 v[4:5], v[4:5], v[16:17]
	v_add_f64 v[12:13], v[172:173], v[160:161]
	v_add_f64 v[14:15], v[134:135], -v[146:147]
	v_add_f64 v[10:11], v[10:11], v[130:131]
	v_add_f64 v[8:9], v[8:9], v[94:95]
	v_add_f64 v[94:95], v[138:139], v[232:233]
	v_add_f64 v[112:113], v[118:119], v[112:113]
	v_add_f64 v[6:7], v[6:7], v[22:23]
	v_add_f64 v[4:5], v[4:5], v[20:21]
	;; [unrolled: 8-line block ×3, first 2 shown]
	v_add_f64 v[24:25], v[180:181], -v[98:99]
	v_add_f64 v[2:3], v[2:3], v[58:59]
	v_add_f64 v[58:59], v[193:194], -v[60:61]
	v_add_f64 v[26:27], v[197:198], -v[100:101]
	v_add_f64 v[108:109], v[150:151], v[108:109]
	v_add_f64 v[12:13], v[12:13], v[14:15]
	v_add_f64 v[14:15], v[178:179], -v[56:57]
	v_add_f64 v[6:7], v[6:7], v[30:31]
	v_add_f64 v[4:5], v[4:5], v[28:29]
	;; [unrolled: 1-line block ×4, first 2 shown]
	v_add_f64 v[30:31], v[246:247], -v[64:65]
	v_mul_f64 v[150:151], v[184:185], s[6:7]
	v_mul_f64 v[106:107], v[176:177], s[30:31]
	v_add_f64 v[14:15], v[0:1], v[14:15]
	v_add_f64 v[0:1], v[0:1], v[24:25]
	;; [unrolled: 1-line block ×5, first 2 shown]
	v_add_f64 v[24:25], v[226:227], -v[102:103]
	v_add_f64 v[32:33], v[82:83], v[236:237]
	v_mul_f64 v[220:221], v[184:185], s[30:31]
	v_add_f64 v[14:15], v[58:59], v[14:15]
	v_add_f64 v[0:1], v[26:27], v[0:1]
	v_add_f64 v[6:7], v[6:7], v[38:39]
	v_add_f64 v[4:5], v[4:5], v[36:37]
	v_add_f64 v[2:3], v[28:29], v[2:3]
	v_add_f64 v[28:29], v[234:235], -v[80:81]
	v_add_f64 v[26:27], v[104:105], -v[110:111]
	v_mul_f64 v[184:185], v[184:185], s[26:27]
	v_add_f64 v[14:15], v[30:31], v[14:15]
	v_add_f64 v[0:1], v[24:25], v[0:1]
	;; [unrolled: 1-line block ×6, first 2 shown]
	v_add_f64 v[32:33], v[228:229], -v[84:85]
	v_add_f64 v[116:117], v[222:223], v[116:117]
	v_add_f64 v[14:15], v[28:29], v[14:15]
	v_mul_f64 v[222:223], v[176:177], s[6:7]
	v_add_f64 v[24:25], v[154:155], -v[124:125]
	v_add_f64 v[0:1], v[26:27], v[0:1]
	v_mul_f64 v[144:145], v[176:177], s[26:27]
	v_add_f64 v[22:23], v[170:171], -v[158:159]
	v_add_f64 v[10:11], v[18:19], v[10:11]
	v_mul_f64 v[182:183], v[182:183], s[48:49]
	v_add_f64 v[18:19], v[162:163], v[150:151]
	v_add_f64 v[36:37], v[6:7], v[46:47]
	;; [unrolled: 1-line block ×6, first 2 shown]
	v_add_f64 v[34:35], v[106:107], -v[90:91]
	v_add_f64 v[32:33], v[32:33], v[14:15]
	v_add_f64 v[26:27], v[222:223], -v[132:133]
	v_add_f64 v[0:1], v[24:25], v[0:1]
	;; [unrolled: 2-line block ×3, first 2 shown]
	v_fma_f64 v[242:243], v[176:177], s[4:5], v[182:183]
	v_fma_f64 v[176:177], v[176:177], s[4:5], -v[182:183]
	v_add_f64 v[6:7], v[18:19], v[12:13]
	v_add_f64 v[14:15], v[36:37], v[50:51]
	;; [unrolled: 1-line block ×9, first 2 shown]
	v_mul_lo_u16_e32 v20, 13, v250
	v_mov_b32_e32 v224, v248
	v_add_lshl_u32 v20, v205, v20, 4
	v_add_f64 v[18:19], v[96:97], v[116:117]
	v_add_f64 v[16:17], v[242:243], v[108:109]
	ds_write_b128 v20, v[12:15]
	ds_write_b128 v20, v[8:11] offset:16
	ds_write_b128 v20, v[4:7] offset:32
	;; [unrolled: 1-line block ×12, first 2 shown]
.LBB0_7:
	s_or_b64 exec, exec, s[20:21]
	s_load_dwordx4 s[4:7], s[2:3], 0x0
	s_movk_i32 s2, 0x5b
	v_add_co_u32_e32 v124, vcc, s2, v250
	v_addc_co_u32_e64 v125, s[2:3], 0, 0, vcc
	s_movk_i32 s2, 0xb6
	v_add_co_u32_e32 v2, vcc, s2, v250
	s_movk_i32 s2, 0x111
	v_add_co_u32_e32 v3, vcc, s2, v250
	;; [unrolled: 2-line block ×3, first 2 shown]
	s_movk_i32 s2, 0x4f
	v_mul_lo_u16_sdwa v1, v250, s2 dst_sel:DWORD dst_unused:UNUSED_PAD src0_sel:BYTE_0 src1_sel:DWORD
	v_lshrrev_b16_e32 v22, 10, v1
	v_mul_lo_u16_e32 v0, 13, v22
	v_sub_u16_e32 v23, v250, v0
	v_mul_lo_u16_sdwa v0, v124, s2 dst_sel:DWORD dst_unused:UNUSED_PAD src0_sel:BYTE_0 src1_sel:DWORD
	v_lshrrev_b16_e32 v64, 10, v0
	v_mul_lo_u16_e32 v7, 13, v64
	v_mov_b32_e32 v5, 4
	v_sub_u16_e32 v65, v124, v7
	v_lshlrev_b32_sdwa v6, v5, v23 dst_sel:DWORD dst_unused:UNUSED_PAD src0_sel:DWORD src1_sel:BYTE_0
	v_lshlrev_b32_sdwa v5, v5, v65 dst_sel:DWORD dst_unused:UNUSED_PAD src0_sel:DWORD src1_sel:BYTE_0
	s_movk_i32 s2, 0x4ec5
	s_waitcnt vmcnt(0) lgkmcnt(0)
	s_barrier
	global_load_dwordx4 v[28:31], v6, s[8:9]
	global_load_dwordx4 v[24:27], v5, s[8:9]
	v_mul_u32_u24_sdwa v5, v2, s2 dst_sel:DWORD dst_unused:UNUSED_PAD src0_sel:WORD_0 src1_sel:DWORD
	v_lshrrev_b32_e32 v66, 18, v5
	v_mul_lo_u16_e32 v5, 13, v66
	v_sub_u16_e32 v67, v2, v5
	v_mul_u32_u24_sdwa v5, v3, s2 dst_sel:DWORD dst_unused:UNUSED_PAD src0_sel:WORD_0 src1_sel:DWORD
	v_lshrrev_b32_e32 v80, 18, v5
	v_mul_lo_u16_e32 v5, 13, v80
	v_lshlrev_b32_e32 v2, 4, v67
	v_sub_u16_e32 v81, v3, v5
	v_lshlrev_b32_e32 v3, 4, v81
	global_load_dwordx4 v[36:39], v2, s[8:9]
	global_load_dwordx4 v[32:35], v3, s[8:9]
	v_mul_u32_u24_sdwa v2, v4, s2 dst_sel:DWORD dst_unused:UNUSED_PAD src0_sel:WORD_0 src1_sel:DWORD
	v_lshrrev_b32_e32 v96, 18, v2
	v_mul_lo_u16_e32 v2, 13, v96
	v_sub_u16_e32 v97, v4, v2
	v_lshlrev_b32_e32 v2, 4, v97
	global_load_dwordx4 v[40:43], v2, s[8:9]
	v_add_lshl_u32 v188, v205, v250, 4
	ds_read_b128 v[2:5], v188
	ds_read_b128 v[6:9], v188 offset:1456
	ds_read_b128 v[10:13], v188 offset:8736
	;; [unrolled: 1-line block ×9, first 2 shown]
	v_mul_u32_u24_e32 v22, 26, v22
	v_mul_u32_u24_e32 v64, 26, v64
	v_add_u32_sdwa v22, v22, v23 dst_sel:DWORD dst_unused:UNUSED_PAD src0_sel:DWORD src1_sel:BYTE_0
	v_add_lshl_u32 v246, v205, v22, 4
	v_add_u32_sdwa v22, v64, v65 dst_sel:DWORD dst_unused:UNUSED_PAD src0_sel:DWORD src1_sel:BYTE_0
	v_mad_legacy_u16 v23, v66, 26, v67
	v_add_lshl_u32 v100, v205, v22, 4
	v_add_lshl_u32 v99, v205, v23, 4
	v_mad_legacy_u16 v98, v80, 26, v81
	s_waitcnt vmcnt(0) lgkmcnt(0)
	s_barrier
	v_cmp_gt_u16_e64 s[2:3], 39, v250
	v_mul_f64 v[22:23], v[50:51], v[30:31]
	v_mul_f64 v[64:65], v[48:49], v[30:31]
	;; [unrolled: 1-line block ×4, first 2 shown]
	v_fma_f64 v[22:23], v[48:49], v[28:29], -v[22:23]
	v_fma_f64 v[48:49], v[50:51], v[28:29], v[64:65]
	v_fma_f64 v[50:51], v[10:11], v[24:25], -v[66:67]
	v_mul_f64 v[82:83], v[16:17], v[38:39]
	v_mul_f64 v[84:85], v[14:15], v[38:39]
	;; [unrolled: 1-line block ×4, first 2 shown]
	v_fma_f64 v[64:65], v[12:13], v[24:25], v[80:81]
	v_add_f64 v[10:11], v[2:3], -v[22:23]
	v_add_f64 v[12:13], v[4:5], -v[48:49]
	v_mul_f64 v[90:91], v[62:63], v[42:43]
	v_mul_f64 v[92:93], v[60:61], v[42:43]
	v_fma_f64 v[66:67], v[14:15], v[36:37], -v[82:83]
	v_fma_f64 v[80:81], v[16:17], v[36:37], v[84:85]
	v_fma_f64 v[56:57], v[56:57], v[32:33], -v[86:87]
	v_fma_f64 v[58:59], v[58:59], v[32:33], v[88:89]
	v_add_f64 v[14:15], v[6:7], -v[50:51]
	v_add_f64 v[16:17], v[8:9], -v[64:65]
	v_fma_f64 v[60:61], v[60:61], v[40:41], -v[90:91]
	v_fma_f64 v[62:63], v[62:63], v[40:41], v[92:93]
	v_add_f64 v[48:49], v[18:19], -v[66:67]
	v_add_f64 v[50:51], v[20:21], -v[80:81]
	;; [unrolled: 1-line block ×4, first 2 shown]
	v_fma_f64 v[2:3], v[2:3], 2.0, -v[10:11]
	v_fma_f64 v[4:5], v[4:5], 2.0, -v[12:13]
	v_add_f64 v[88:89], v[52:53], -v[60:61]
	v_add_f64 v[90:91], v[54:55], -v[62:63]
	ds_write_b128 v246, v[10:13] offset:208
	v_fma_f64 v[6:7], v[6:7], 2.0, -v[14:15]
	v_fma_f64 v[8:9], v[8:9], 2.0, -v[16:17]
	;; [unrolled: 1-line block ×8, first 2 shown]
	ds_write_b128 v246, v[2:5]
	ds_write_b128 v100, v[14:17] offset:208
	v_mad_legacy_u16 v2, v96, 26, v97
	v_add_lshl_u32 v22, v205, v98, 4
	v_add_lshl_u32 v23, v205, v2, 4
	buffer_store_dword v100, off, s[52:55], 0 offset:4 ; 4-byte Folded Spill
	ds_write_b128 v100, v[6:9]
	ds_write_b128 v99, v[10:13]
	buffer_store_dword v99, off, s[52:55], 0 ; 4-byte Folded Spill
	ds_write_b128 v99, v[48:51] offset:208
	ds_write_b128 v22, v[18:21]
	ds_write_b128 v22, v[80:83] offset:208
	ds_write_b128 v23, v[92:95]
	ds_write_b128 v23, v[88:91] offset:208
	s_waitcnt vmcnt(0) lgkmcnt(0)
	s_barrier
	ds_read_b128 v[84:87], v188
	ds_read_b128 v[120:123], v188 offset:2080
	ds_read_b128 v[116:119], v188 offset:4160
	;; [unrolled: 1-line block ×6, first 2 shown]
                                        ; implicit-def: $vgpr96_vgpr97
	s_and_saveexec_b64 s[10:11], s[2:3]
	s_cbranch_execz .LBB0_9
; %bb.8:
	ds_read_b128 v[80:83], v188 offset:1456
	ds_read_b128 v[92:95], v188 offset:3536
	;; [unrolled: 1-line block ×7, first 2 shown]
.LBB0_9:
	s_or_b64 exec, exec, s[10:11]
	v_lshrrev_b16_e32 v126, 11, v1
	v_mul_lo_u16_e32 v1, 26, v126
	v_sub_u16_e32 v1, v250, v1
	v_and_b32_e32 v127, 0xff, v1
	v_mov_b32_e32 v1, s8
	s_movk_i32 s16, 0x60
	v_mov_b32_e32 v2, s9
	v_mad_u64_u32 v[3:4], s[10:11], v127, s16, v[1:2]
	v_lshrrev_b16_e32 v227, 11, v0
	v_mul_lo_u16_e32 v0, 26, v227
	v_sub_u16_e32 v0, v124, v0
	v_and_b32_e32 v228, 0xff, v0
	global_load_dwordx4 v[52:55], v[3:4], off offset:224
	global_load_dwordx4 v[56:59], v[3:4], off offset:208
	;; [unrolled: 1-line block ×5, first 2 shown]
	v_mad_u64_u32 v[16:17], s[10:11], v228, s16, v[1:2]
	global_load_dwordx4 v[64:67], v[3:4], off offset:288
	global_load_dwordx4 v[5:8], v[16:17], off offset:208
                                        ; kill: killed $vgpr3_vgpr4
	s_nop 0
	global_load_dwordx4 v[0:3], v[16:17], off offset:224
	global_load_dwordx4 v[241:244], v[16:17], off offset:240
	;; [unrolled: 1-line block ×5, first 2 shown]
	s_mov_b32 s16, 0x37e14327
	s_mov_b32 s10, 0x36b3c0b5
	;; [unrolled: 1-line block ×20, first 2 shown]
	s_waitcnt vmcnt(11) lgkmcnt(4)
	v_mul_f64 v[132:133], v[118:119], v[54:55]
	s_waitcnt vmcnt(10)
	v_mul_f64 v[128:129], v[122:123], v[58:59]
	s_waitcnt vmcnt(9) lgkmcnt(2)
	v_mul_f64 v[140:141], v[110:111], v[46:47]
	s_waitcnt vmcnt(8)
	v_mul_f64 v[136:137], v[114:115], v[50:51]
	s_waitcnt vmcnt(5)
	;; [unrolled: 2-line block ×3, first 2 shown]
	v_mul_f64 v[156:157], v[90:91], v[2:3]
	v_mul_f64 v[138:139], v[112:113], v[50:51]
	;; [unrolled: 1-line block ×3, first 2 shown]
	s_waitcnt lgkmcnt(1)
	v_mul_f64 v[144:145], v[106:107], v[62:63]
	s_waitcnt lgkmcnt(0)
	v_mul_f64 v[148:149], v[102:103], v[66:67]
	v_mul_f64 v[154:155], v[92:93], v[7:8]
	;; [unrolled: 1-line block ×3, first 2 shown]
	v_fma_f64 v[112:113], v[112:113], v[48:49], -v[136:137]
	v_fma_f64 v[108:109], v[108:109], v[44:45], -v[140:141]
	;; [unrolled: 1-line block ×3, first 2 shown]
	buffer_store_dword v5, off, s[52:55], 0 offset:12 ; 4-byte Folded Spill
	s_nop 0
	buffer_store_dword v6, off, s[52:55], 0 offset:16 ; 4-byte Folded Spill
	buffer_store_dword v7, off, s[52:55], 0 offset:20 ; 4-byte Folded Spill
	;; [unrolled: 1-line block ×3, first 2 shown]
	v_fma_f64 v[140:141], v[88:89], v[0:1], -v[156:157]
	buffer_store_dword v0, off, s[52:55], 0 offset:28 ; 4-byte Folded Spill
	s_nop 0
	buffer_store_dword v1, off, s[52:55], 0 offset:32 ; 4-byte Folded Spill
	buffer_store_dword v2, off, s[52:55], 0 offset:36 ; 4-byte Folded Spill
	;; [unrolled: 1-line block ×3, first 2 shown]
	v_mul_f64 v[130:131], v[120:121], v[58:59]
	v_mul_f64 v[134:135], v[116:117], v[54:55]
	;; [unrolled: 1-line block ×4, first 2 shown]
	v_fma_f64 v[120:121], v[120:121], v[56:57], -v[128:129]
	v_fma_f64 v[116:117], v[116:117], v[52:53], -v[132:133]
	;; [unrolled: 1-line block ×4, first 2 shown]
	s_waitcnt vmcnt(9)
	v_mul_f64 v[168:169], v[78:79], v[20:21]
	s_waitcnt vmcnt(8)
	v_mul_f64 v[172:173], v[98:99], v[11:12]
	v_mul_f64 v[170:171], v[76:77], v[20:21]
	;; [unrolled: 1-line block ×3, first 2 shown]
	v_fma_f64 v[122:123], v[122:123], v[56:57], v[130:131]
	v_fma_f64 v[118:119], v[118:119], v[52:53], v[134:135]
	;; [unrolled: 1-line block ×3, first 2 shown]
	v_add_f64 v[88:89], v[120:121], v[100:101]
	v_add_f64 v[92:93], v[120:121], -v[100:101]
	v_add_f64 v[100:101], v[116:117], v[104:105]
	v_add_f64 v[104:105], v[116:117], -v[104:105]
	;; [unrolled: 2-line block ×3, first 2 shown]
	v_fma_f64 v[76:77], v[76:77], v[18:19], -v[168:169]
	buffer_store_dword v18, off, s[52:55], 0 offset:60 ; 4-byte Folded Spill
	s_nop 0
	buffer_store_dword v19, off, s[52:55], 0 offset:64 ; 4-byte Folded Spill
	buffer_store_dword v20, off, s[52:55], 0 offset:68 ; 4-byte Folded Spill
	;; [unrolled: 1-line block ×3, first 2 shown]
	v_fma_f64 v[102:103], v[102:103], v[64:65], v[150:151]
	v_fma_f64 v[114:115], v[114:115], v[48:49], v[138:139]
	v_add_f64 v[112:113], v[100:101], v[88:89]
	v_add_f64 v[120:121], v[100:101], -v[88:89]
	v_add_f64 v[88:89], v[88:89], -v[116:117]
	;; [unrolled: 1-line block ×3, first 2 shown]
	v_add_f64 v[128:129], v[108:109], v[104:105]
	v_add_f64 v[132:133], v[108:109], -v[104:105]
	v_add_f64 v[104:105], v[104:105], -v[92:93]
	;; [unrolled: 1-line block ×3, first 2 shown]
	v_add_f64 v[112:113], v[116:117], v[112:113]
	v_fma_f64 v[110:111], v[110:111], v[44:45], v[142:143]
	v_mul_f64 v[116:117], v[88:89], s[16:17]
	v_mul_f64 v[160:161], v[70:71], v[243:244]
	v_add_f64 v[92:93], v[128:129], v[92:93]
	v_mul_f64 v[128:129], v[100:101], s[10:11]
	v_mul_f64 v[132:133], v[132:133], s[20:21]
	;; [unrolled: 1-line block ×3, first 2 shown]
	v_add_f64 v[88:89], v[84:85], v[112:113]
	v_mul_f64 v[162:163], v[68:69], v[243:244]
	v_fma_f64 v[84:85], v[100:101], s[10:11], v[116:117]
	v_fma_f64 v[116:117], v[120:121], s[26:27], -v[116:117]
	v_mul_f64 v[164:165], v[74:75], v[235:236]
	v_fma_f64 v[100:101], v[120:121], s[24:25], -v[128:129]
	v_fma_f64 v[120:121], v[108:109], s[30:31], v[132:133]
	v_fma_f64 v[108:109], v[108:109], s[34:35], -v[144:145]
	v_fma_f64 v[144:145], v[96:97], v[9:10], -v[172:173]
	buffer_store_dword v9, off, s[52:55], 0 offset:44 ; 4-byte Folded Spill
	s_nop 0
	buffer_store_dword v10, off, s[52:55], 0 offset:48 ; 4-byte Folded Spill
	buffer_store_dword v11, off, s[52:55], 0 offset:52 ; 4-byte Folded Spill
	;; [unrolled: 1-line block ×3, first 2 shown]
	v_fma_f64 v[112:113], v[112:113], s[22:23], v[88:89]
	v_fma_f64 v[104:105], v[104:105], s[18:19], -v[132:133]
	v_mul_f64 v[166:167], v[72:73], v[235:236]
	v_fma_f64 v[68:69], v[68:69], v[241:242], -v[160:161]
	v_fma_f64 v[70:71], v[70:71], v[241:242], v[162:163]
	v_fma_f64 v[72:73], v[72:73], v[233:234], -v[164:165]
	v_fma_f64 v[108:109], v[92:93], s[28:29], v[108:109]
	v_add_f64 v[84:85], v[84:85], v[112:113]
	v_add_f64 v[100:101], v[100:101], v[112:113]
	v_fma_f64 v[104:105], v[92:93], s[28:29], v[104:105]
	v_fma_f64 v[74:75], v[74:75], v[233:234], v[166:167]
	v_add_f64 v[112:113], v[116:117], v[112:113]
	s_waitcnt vmcnt(0)
	s_barrier
	v_fma_f64 v[138:139], v[94:95], v[5:6], v[154:155]
	v_add_f64 v[94:95], v[122:123], -v[102:103]
	v_fma_f64 v[142:143], v[90:91], v[0:1], v[158:159]
	v_add_f64 v[90:91], v[122:123], v[102:103]
	v_add_f64 v[102:103], v[118:119], v[106:107]
	v_add_f64 v[106:107], v[118:119], -v[106:107]
	v_add_f64 v[118:119], v[114:115], v[110:111]
	v_add_f64 v[110:111], v[110:111], -v[114:115]
	v_mul_u32_u24_e32 v0, 0xb6, v126
	v_add_u32_e32 v0, v0, v127
	v_add_lshl_u32 v223, v205, v0, 4
	v_add_f64 v[114:115], v[102:103], v[90:91]
	v_add_f64 v[122:123], v[102:103], -v[90:91]
	v_add_f64 v[90:91], v[90:91], -v[118:119]
	;; [unrolled: 1-line block ×3, first 2 shown]
	v_add_f64 v[130:131], v[110:111], v[106:107]
	v_add_f64 v[134:135], v[110:111], -v[106:107]
	v_add_f64 v[110:111], v[94:95], -v[110:111]
	v_add_f64 v[106:107], v[106:107], -v[94:95]
	v_add_f64 v[114:115], v[118:119], v[114:115]
	v_mul_f64 v[118:119], v[90:91], s[16:17]
	v_add_f64 v[94:95], v[130:131], v[94:95]
	v_mul_f64 v[130:131], v[102:103], s[10:11]
	v_mul_f64 v[134:135], v[134:135], s[20:21]
	;; [unrolled: 1-line block ×3, first 2 shown]
	v_add_f64 v[90:91], v[86:87], v[114:115]
	v_fma_f64 v[78:79], v[78:79], v[18:19], v[170:171]
	v_fma_f64 v[86:87], v[102:103], s[10:11], v[118:119]
	v_fma_f64 v[118:119], v[122:123], s[26:27], -v[118:119]
	v_fma_f64 v[102:103], v[122:123], s[24:25], -v[130:131]
	v_fma_f64 v[122:123], v[110:111], s[30:31], v[134:135]
	v_fma_f64 v[106:107], v[106:107], s[18:19], -v[134:135]
	v_fma_f64 v[114:115], v[114:115], s[22:23], v[90:91]
	;; [unrolled: 2-line block ×3, first 2 shown]
	v_fma_f64 v[132:133], v[94:95], s[28:29], v[122:123]
	v_fma_f64 v[106:107], v[94:95], s[28:29], v[106:107]
	v_add_f64 v[86:87], v[86:87], v[114:115]
	v_add_f64 v[102:103], v[102:103], v[114:115]
	v_add_f64 v[114:115], v[118:119], v[114:115]
	v_fma_f64 v[110:111], v[94:95], s[28:29], v[110:111]
	v_add_f64 v[92:93], v[132:133], v[84:85]
	v_add_f64 v[116:117], v[100:101], -v[106:107]
	v_add_f64 v[94:95], v[86:87], -v[134:135]
	v_fma_f64 v[146:147], v[98:99], v[9:10], v[174:175]
	v_add_f64 v[118:119], v[104:105], v[102:103]
	v_add_f64 v[120:121], v[106:107], v[100:101]
	v_add_f64 v[122:123], v[102:103], -v[104:105]
	v_add_f64 v[132:133], v[84:85], -v[132:133]
	v_add_f64 v[134:135], v[134:135], v[86:87]
	v_add_f64 v[84:85], v[136:137], v[144:145]
	;; [unrolled: 1-line block ×6, first 2 shown]
	v_add_f64 v[98:99], v[114:115], -v[108:109]
	v_add_f64 v[128:129], v[112:113], -v[110:111]
	v_add_f64 v[130:131], v[108:109], v[114:115]
	v_add_f64 v[100:101], v[136:137], -v[144:145]
	v_add_f64 v[102:103], v[138:139], -v[146:147]
	;; [unrolled: 1-line block ×4, first 2 shown]
	v_add_f64 v[108:109], v[68:69], v[72:73]
	v_add_f64 v[110:111], v[70:71], v[74:75]
	v_add_f64 v[68:69], v[72:73], -v[68:69]
	v_add_f64 v[70:71], v[74:75], -v[70:71]
	v_add_f64 v[72:73], v[104:105], v[84:85]
	v_add_f64 v[74:75], v[106:107], v[86:87]
	v_add_f64 v[112:113], v[104:105], -v[84:85]
	v_add_f64 v[114:115], v[106:107], -v[86:87]
	;; [unrolled: 1-line block ×6, first 2 shown]
	v_add_f64 v[136:137], v[68:69], v[76:77]
	v_add_f64 v[138:139], v[70:71], v[78:79]
	v_add_f64 v[140:141], v[68:69], -v[76:77]
	v_add_f64 v[142:143], v[70:71], -v[78:79]
	v_add_f64 v[72:73], v[108:109], v[72:73]
	v_add_f64 v[74:75], v[110:111], v[74:75]
	v_add_f64 v[76:77], v[76:77], -v[100:101]
	v_add_f64 v[78:79], v[78:79], -v[102:103]
	;; [unrolled: 1-line block ×4, first 2 shown]
	v_add_f64 v[100:101], v[136:137], v[100:101]
	v_add_f64 v[102:103], v[138:139], v[102:103]
	;; [unrolled: 1-line block ×4, first 2 shown]
	v_mul_f64 v[80:81], v[84:85], s[16:17]
	v_mul_f64 v[82:83], v[86:87], s[16:17]
	;; [unrolled: 1-line block ×8, first 2 shown]
	v_fma_f64 v[144:145], v[72:73], s[22:23], v[68:69]
	v_fma_f64 v[146:147], v[74:75], s[22:23], v[70:71]
	;; [unrolled: 1-line block ×4, first 2 shown]
	v_fma_f64 v[84:85], v[112:113], s[24:25], -v[84:85]
	v_fma_f64 v[86:87], v[114:115], s[24:25], -v[86:87]
	;; [unrolled: 1-line block ×4, first 2 shown]
	v_fma_f64 v[104:105], v[108:109], s[30:31], v[136:137]
	v_fma_f64 v[106:107], v[110:111], s[30:31], v[138:139]
	v_fma_f64 v[78:79], v[78:79], s[18:19], -v[138:139]
	v_fma_f64 v[76:77], v[76:77], s[18:19], -v[136:137]
	;; [unrolled: 1-line block ×4, first 2 shown]
	v_add_f64 v[72:73], v[72:73], v[144:145]
	v_add_f64 v[74:75], v[74:75], v[146:147]
	;; [unrolled: 1-line block ×4, first 2 shown]
	v_fma_f64 v[136:137], v[102:103], s[28:29], v[78:79]
	v_fma_f64 v[138:139], v[100:101], s[28:29], v[76:77]
	v_add_f64 v[78:79], v[80:81], v[144:145]
	v_add_f64 v[84:85], v[82:83], v[146:147]
	v_fma_f64 v[82:83], v[102:103], s[28:29], v[110:111]
	v_fma_f64 v[86:87], v[100:101], s[28:29], v[108:109]
	;; [unrolled: 1-line block ×4, first 2 shown]
	v_add_f64 v[104:105], v[112:113], -v[136:137]
	v_add_f64 v[106:107], v[138:139], v[114:115]
	v_add_f64 v[108:109], v[136:137], v[112:113]
	v_add_f64 v[110:111], v[114:115], -v[138:139]
	v_add_f64 v[112:113], v[78:79], -v[82:83]
	v_add_f64 v[114:115], v[86:87], v[84:85]
	v_add_f64 v[100:101], v[72:73], -v[76:77]
	v_add_f64 v[102:103], v[80:81], v[74:75]
	ds_write_b128 v223, v[88:91]
	ds_write_b128 v223, v[92:95] offset:416
	ds_write_b128 v223, v[96:99] offset:832
	;; [unrolled: 1-line block ×6, first 2 shown]
	s_and_saveexec_b64 s[10:11], s[2:3]
	s_cbranch_execz .LBB0_11
; %bb.10:
	v_add_f64 v[74:75], v[74:75], -v[80:81]
	v_add_f64 v[72:73], v[76:77], v[72:73]
	v_add_f64 v[84:85], v[84:85], -v[86:87]
	v_add_f64 v[82:83], v[82:83], v[78:79]
	s_movk_i32 s16, 0x4f
	v_mul_lo_u16_sdwa v0, v124, s16 dst_sel:DWORD dst_unused:UNUSED_PAD src0_sel:BYTE_0 src1_sel:DWORD
	v_lshrrev_b16_e32 v0, 11, v0
	v_mul_u32_u24_e32 v0, 0xb6, v0
	v_add_u32_e32 v0, v0, v228
	v_add_lshl_u32 v0, v205, v0, 4
	ds_write_b128 v0, v[68:71]
	ds_write_b128 v0, v[72:75] offset:416
	ds_write_b128 v0, v[82:85] offset:832
	;; [unrolled: 1-line block ×6, first 2 shown]
.LBB0_11:
	s_or_b64 exec, exec, s[10:11]
	v_lshlrev_b32_e32 v0, 6, v250
	s_waitcnt lgkmcnt(0)
	s_barrier
	global_load_dwordx4 v[76:79], v0, s[8:9] offset:2720
	global_load_dwordx4 v[84:87], v0, s[8:9] offset:2704
	;; [unrolled: 1-line block ×4, first 2 shown]
	v_lshlrev_b64 v[68:69], 6, v[124:125]
	v_mov_b32_e32 v0, s9
	v_add_co_u32_e32 v68, vcc, s8, v68
	v_addc_co_u32_e32 v69, vcc, v0, v69, vcc
	global_load_dwordx4 v[96:99], v[68:69], off offset:2704
	global_load_dwordx4 v[92:95], v[68:69], off offset:2720
	;; [unrolled: 1-line block ×3, first 2 shown]
	s_nop 0
	global_load_dwordx4 v[68:71], v[68:69], off offset:2752
	ds_read_b128 v[116:119], v188
	ds_read_b128 v[136:139], v188 offset:1456
	ds_read_b128 v[120:123], v188 offset:2912
	;; [unrolled: 1-line block ×9, first 2 shown]
	s_mov_b32 s16, 0x134454ff
	s_mov_b32 s17, 0x3fee6f0e
	;; [unrolled: 1-line block ×10, first 2 shown]
	v_lshl_add_u32 v255, v250, 4, v245
	s_waitcnt vmcnt(7) lgkmcnt(5)
	v_mul_f64 v[160:161], v[130:131], v[78:79]
	s_waitcnt vmcnt(6)
	v_mul_f64 v[156:157], v[122:123], v[86:87]
	s_waitcnt vmcnt(5) lgkmcnt(1)
	v_mul_f64 v[168:169], v[150:151], v[74:75]
	s_waitcnt vmcnt(4)
	v_mul_f64 v[164:165], v[142:143], v[82:83]
	v_mul_f64 v[158:159], v[120:121], v[86:87]
	;; [unrolled: 1-line block ×5, first 2 shown]
	s_waitcnt vmcnt(3)
	v_mul_f64 v[172:173], v[126:127], v[98:99]
	v_mul_f64 v[174:175], v[124:125], v[98:99]
	s_waitcnt vmcnt(2)
	v_mul_f64 v[176:177], v[134:135], v[94:95]
	s_waitcnt vmcnt(1)
	v_mul_f64 v[180:181], v[146:147], v[90:91]
	v_fma_f64 v[120:121], v[120:121], v[84:85], -v[156:157]
	v_fma_f64 v[128:129], v[128:129], v[76:77], -v[160:161]
	;; [unrolled: 1-line block ×4, first 2 shown]
	v_mul_f64 v[178:179], v[132:133], v[94:95]
	v_mul_f64 v[182:183], v[144:145], v[90:91]
	s_waitcnt vmcnt(0) lgkmcnt(0)
	v_mul_f64 v[184:185], v[154:155], v[70:71]
	v_mul_f64 v[186:187], v[152:153], v[70:71]
	v_fma_f64 v[122:123], v[122:123], v[84:85], v[158:159]
	v_fma_f64 v[130:131], v[130:131], v[76:77], v[162:163]
	;; [unrolled: 1-line block ×4, first 2 shown]
	v_fma_f64 v[156:157], v[124:125], v[96:97], -v[172:173]
	v_fma_f64 v[158:159], v[126:127], v[96:97], v[174:175]
	v_fma_f64 v[160:161], v[132:133], v[92:93], -v[176:177]
	v_fma_f64 v[144:145], v[144:145], v[88:89], -v[180:181]
	v_add_f64 v[124:125], v[116:117], v[120:121]
	v_add_f64 v[126:127], v[128:129], v[140:141]
	;; [unrolled: 1-line block ×3, first 2 shown]
	v_fma_f64 v[162:163], v[134:135], v[92:93], v[178:179]
	v_fma_f64 v[152:153], v[152:153], v[68:69], -v[184:185]
	v_fma_f64 v[154:155], v[154:155], v[68:69], v[186:187]
	v_add_f64 v[132:133], v[122:123], -v[150:151]
	v_add_f64 v[134:135], v[130:131], -v[142:143]
	;; [unrolled: 1-line block ×6, first 2 shown]
	v_add_f64 v[174:175], v[118:119], v[122:123]
	v_add_f64 v[176:177], v[130:131], v[142:143]
	;; [unrolled: 1-line block ×5, first 2 shown]
	v_fma_f64 v[126:127], v[126:127], -0.5, v[116:117]
	v_fma_f64 v[116:117], v[168:169], -0.5, v[116:117]
	v_fma_f64 v[146:147], v[146:147], v[88:89], v[182:183]
	v_add_f64 v[178:179], v[120:121], -v[148:149]
	v_add_f64 v[120:121], v[128:129], -v[140:141]
	;; [unrolled: 1-line block ×5, first 2 shown]
	v_add_f64 v[189:190], v[136:137], v[156:157]
	v_add_f64 v[193:194], v[158:159], -v[154:155]
	v_add_f64 v[128:129], v[164:165], v[166:167]
	v_add_f64 v[164:165], v[170:171], v[172:173]
	;; [unrolled: 1-line block ×3, first 2 shown]
	v_fma_f64 v[166:167], v[176:177], -0.5, v[118:119]
	v_fma_f64 v[118:119], v[184:185], -0.5, v[118:119]
	;; [unrolled: 1-line block ×3, first 2 shown]
	v_add_f64 v[124:125], v[124:125], v[140:141]
	v_fma_f64 v[140:141], v[132:133], s[16:17], v[126:127]
	v_fma_f64 v[126:127], v[132:133], s[20:21], v[126:127]
	;; [unrolled: 1-line block ×4, first 2 shown]
	v_add_f64 v[186:187], v[142:143], -v[150:151]
	v_add_f64 v[195:196], v[162:163], -v[146:147]
	;; [unrolled: 1-line block ×4, first 2 shown]
	v_add_f64 v[168:169], v[180:181], v[182:183]
	v_add_f64 v[170:171], v[189:190], v[160:161]
	;; [unrolled: 1-line block ×3, first 2 shown]
	v_fma_f64 v[142:143], v[178:179], s[20:21], v[166:167]
	v_fma_f64 v[166:167], v[178:179], s[16:17], v[166:167]
	;; [unrolled: 1-line block ×5, first 2 shown]
	v_add_f64 v[116:117], v[124:125], v[148:149]
	v_fma_f64 v[124:125], v[134:135], s[8:9], v[140:141]
	v_fma_f64 v[126:127], v[134:135], s[18:19], v[126:127]
	;; [unrolled: 1-line block ×4, first 2 shown]
	v_add_f64 v[118:119], v[130:131], v[150:151]
	v_fma_f64 v[130:131], v[120:121], s[18:19], v[142:143]
	v_fma_f64 v[142:143], v[120:121], s[8:9], v[166:167]
	;; [unrolled: 1-line block ×7, first 2 shown]
	v_add_f64 v[140:141], v[122:123], v[186:187]
	v_fma_f64 v[150:151], v[178:179], s[8:9], v[182:183]
	v_add_f64 v[164:165], v[170:171], v[144:145]
	v_fma_f64 v[166:167], v[195:196], s[8:9], v[184:185]
	v_add_f64 v[170:171], v[197:198], v[199:200]
	v_add_f64 v[201:202], v[156:157], v[152:153]
	v_fma_f64 v[122:123], v[168:169], s[10:11], v[130:131]
	v_fma_f64 v[134:135], v[168:169], s[10:11], v[142:143]
	;; [unrolled: 1-line block ×4, first 2 shown]
	v_add_f64 v[142:143], v[162:163], v[146:147]
	v_fma_f64 v[148:149], v[193:194], s[20:21], v[172:173]
	v_fma_f64 v[140:141], v[170:171], s[10:11], v[166:167]
	v_add_f64 v[166:167], v[158:159], v[154:155]
	v_fma_f64 v[174:175], v[201:202], -0.5, v[136:137]
	v_add_f64 v[136:137], v[164:165], v[152:153]
	v_add_f64 v[164:165], v[160:161], -v[156:157]
	v_add_f64 v[168:169], v[144:145], -v[152:153]
	v_add_f64 v[172:173], v[138:139], v[158:159]
	v_fma_f64 v[142:143], v[142:143], -0.5, v[138:139]
	v_add_f64 v[152:153], v[156:157], -v[152:153]
	v_add_f64 v[144:145], v[160:161], -v[144:145]
	v_fma_f64 v[138:139], v[166:167], -0.5, v[138:139]
	v_fma_f64 v[150:151], v[195:196], s[20:21], v[174:175]
	v_fma_f64 v[160:161], v[195:196], s[16:17], v[174:175]
	v_add_f64 v[156:157], v[164:165], v[168:169]
	v_add_f64 v[164:165], v[172:173], v[162:163]
	v_add_f64 v[168:169], v[158:159], -v[162:163]
	v_fma_f64 v[166:167], v[152:153], s[20:21], v[142:143]
	v_add_f64 v[172:173], v[154:155], -v[146:147]
	v_fma_f64 v[142:143], v[152:153], s[16:17], v[142:143]
	v_fma_f64 v[174:175], v[144:145], s[16:17], v[138:139]
	v_add_f64 v[158:159], v[162:163], -v[158:159]
	v_add_f64 v[162:163], v[146:147], -v[154:155]
	v_fma_f64 v[138:139], v[144:145], s[20:21], v[138:139]
	v_fma_f64 v[148:149], v[195:196], s[18:19], v[148:149]
	;; [unrolled: 1-line block ×4, first 2 shown]
	v_add_f64 v[146:147], v[164:165], v[146:147]
	v_fma_f64 v[164:165], v[144:145], s[18:19], v[166:167]
	v_add_f64 v[166:167], v[168:169], v[172:173]
	v_fma_f64 v[168:169], v[144:145], s[8:9], v[142:143]
	v_fma_f64 v[172:173], v[152:153], s[18:19], v[174:175]
	v_add_f64 v[158:159], v[158:159], v[162:163]
	v_fma_f64 v[162:163], v[152:153], s[8:9], v[138:139]
	v_fma_f64 v[152:153], v[170:171], s[10:11], v[148:149]
	v_fma_f64 v[144:145], v[156:157], s[10:11], v[150:151]
	v_fma_f64 v[148:149], v[156:157], s[10:11], v[160:161]
	v_add_f64 v[138:139], v[146:147], v[154:155]
	v_fma_f64 v[142:143], v[166:167], s[10:11], v[164:165]
	v_fma_f64 v[154:155], v[166:167], s[10:11], v[168:169]
	;; [unrolled: 1-line block ×4, first 2 shown]
	ds_write_b128 v255, v[116:119]
	ds_write_b128 v255, v[120:123] offset:2912
	ds_write_b128 v255, v[124:127] offset:5824
	;; [unrolled: 1-line block ×9, first 2 shown]
	s_waitcnt lgkmcnt(0)
	s_barrier
	s_and_saveexec_b64 s[8:9], s[0:1]
	s_cbranch_execz .LBB0_13
; %bb.12:
	v_add_co_u32_e32 v0, vcc, s14, v224
	v_mov_b32_e32 v1, s15
	v_addc_co_u32_e32 v1, vcc, 0, v1, vcc
	v_add_co_u32_e32 v168, vcc, 0x38e0, v0
	v_addc_co_u32_e32 v169, vcc, 0, v1, vcc
	v_add_co_u32_e32 v160, vcc, 0x3000, v0
	v_addc_co_u32_e32 v161, vcc, 0, v1, vcc
	global_load_dwordx4 v[160:163], v[160:161], off offset:2272
	ds_read_b128 v[156:159], v255
	s_movk_i32 s10, 0x4000
	s_waitcnt vmcnt(0) lgkmcnt(0)
	v_mul_f64 v[164:165], v[158:159], v[162:163]
	v_fma_f64 v[164:165], v[156:157], v[160:161], -v[164:165]
	v_mul_f64 v[156:157], v[156:157], v[162:163]
	v_fma_f64 v[166:167], v[158:159], v[160:161], v[156:157]
	global_load_dwordx4 v[160:163], v[168:169], off offset:1120
	ds_read_b128 v[156:159], v255 offset:1120
	ds_write_b128 v255, v[164:167]
	s_waitcnt vmcnt(0) lgkmcnt(1)
	v_mul_f64 v[164:165], v[158:159], v[162:163]
	v_fma_f64 v[164:165], v[156:157], v[160:161], -v[164:165]
	v_mul_f64 v[156:157], v[156:157], v[162:163]
	v_fma_f64 v[166:167], v[158:159], v[160:161], v[156:157]
	global_load_dwordx4 v[160:163], v[168:169], off offset:2240
	ds_read_b128 v[156:159], v255 offset:2240
	ds_write_b128 v255, v[164:167] offset:1120
	s_waitcnt vmcnt(0) lgkmcnt(1)
	v_mul_f64 v[164:165], v[158:159], v[162:163]
	v_fma_f64 v[164:165], v[156:157], v[160:161], -v[164:165]
	v_mul_f64 v[156:157], v[156:157], v[162:163]
	v_fma_f64 v[166:167], v[158:159], v[160:161], v[156:157]
	global_load_dwordx4 v[160:163], v[168:169], off offset:3360
	ds_read_b128 v[156:159], v255 offset:3360
	v_add_co_u32_e32 v168, vcc, s10, v0
	v_addc_co_u32_e32 v169, vcc, 0, v1, vcc
	s_movk_i32 s10, 0x5000
	ds_write_b128 v255, v[164:167] offset:2240
	s_waitcnt vmcnt(0) lgkmcnt(1)
	v_mul_f64 v[164:165], v[158:159], v[162:163]
	v_fma_f64 v[164:165], v[156:157], v[160:161], -v[164:165]
	v_mul_f64 v[156:157], v[156:157], v[162:163]
	v_fma_f64 v[166:167], v[158:159], v[160:161], v[156:157]
	global_load_dwordx4 v[160:163], v[168:169], off offset:2656
	ds_read_b128 v[156:159], v255 offset:4480
	ds_write_b128 v255, v[164:167] offset:3360
	s_waitcnt vmcnt(0) lgkmcnt(1)
	v_mul_f64 v[164:165], v[158:159], v[162:163]
	v_fma_f64 v[164:165], v[156:157], v[160:161], -v[164:165]
	v_mul_f64 v[156:157], v[156:157], v[162:163]
	v_fma_f64 v[166:167], v[158:159], v[160:161], v[156:157]
	global_load_dwordx4 v[160:163], v[168:169], off offset:3776
	ds_read_b128 v[156:159], v255 offset:5600
	v_add_co_u32_e32 v168, vcc, s10, v0
	v_addc_co_u32_e32 v169, vcc, 0, v1, vcc
	s_movk_i32 s10, 0x6000
	ds_write_b128 v255, v[164:167] offset:4480
	s_waitcnt vmcnt(0) lgkmcnt(1)
	v_mul_f64 v[164:165], v[158:159], v[162:163]
	v_fma_f64 v[164:165], v[156:157], v[160:161], -v[164:165]
	v_mul_f64 v[156:157], v[156:157], v[162:163]
	v_fma_f64 v[166:167], v[158:159], v[160:161], v[156:157]
	global_load_dwordx4 v[160:163], v[168:169], off offset:800
	ds_read_b128 v[156:159], v255 offset:6720
	ds_write_b128 v255, v[164:167] offset:5600
	s_waitcnt vmcnt(0) lgkmcnt(1)
	v_mul_f64 v[164:165], v[158:159], v[162:163]
	v_fma_f64 v[164:165], v[156:157], v[160:161], -v[164:165]
	v_mul_f64 v[156:157], v[156:157], v[162:163]
	v_fma_f64 v[166:167], v[158:159], v[160:161], v[156:157]
	global_load_dwordx4 v[160:163], v[168:169], off offset:1920
	ds_read_b128 v[156:159], v255 offset:7840
	;; [unrolled: 8-line block ×3, first 2 shown]
	v_add_co_u32_e32 v168, vcc, s10, v0
	v_addc_co_u32_e32 v169, vcc, 0, v1, vcc
	ds_write_b128 v255, v[164:167] offset:7840
	s_waitcnt vmcnt(0) lgkmcnt(1)
	v_mul_f64 v[164:165], v[158:159], v[162:163]
	v_fma_f64 v[164:165], v[156:157], v[160:161], -v[164:165]
	v_mul_f64 v[156:157], v[156:157], v[162:163]
	v_fma_f64 v[166:167], v[158:159], v[160:161], v[156:157]
	global_load_dwordx4 v[160:163], v[168:169], off offset:64
	ds_read_b128 v[156:159], v255 offset:10080
	ds_write_b128 v255, v[164:167] offset:8960
	s_waitcnt vmcnt(0) lgkmcnt(1)
	v_mul_f64 v[164:165], v[158:159], v[162:163]
	v_fma_f64 v[164:165], v[156:157], v[160:161], -v[164:165]
	v_mul_f64 v[156:157], v[156:157], v[162:163]
	v_fma_f64 v[166:167], v[158:159], v[160:161], v[156:157]
	global_load_dwordx4 v[160:163], v[168:169], off offset:1184
	ds_read_b128 v[156:159], v255 offset:11200
	;; [unrolled: 8-line block ×4, first 2 shown]
	ds_write_b128 v255, v[164:167] offset:12320
	s_waitcnt vmcnt(0) lgkmcnt(1)
	v_mul_f64 v[164:165], v[158:159], v[162:163]
	v_fma_f64 v[164:165], v[156:157], v[160:161], -v[164:165]
	v_mul_f64 v[156:157], v[156:157], v[162:163]
	v_fma_f64 v[166:167], v[158:159], v[160:161], v[156:157]
	ds_write_b128 v255, v[164:167] offset:13440
.LBB0_13:
	s_or_b64 exec, exec, s[8:9]
	s_waitcnt lgkmcnt(0)
	s_barrier
	s_and_saveexec_b64 s[8:9], s[0:1]
	s_cbranch_execz .LBB0_15
; %bb.14:
	ds_read_b128 v[116:119], v255
	ds_read_b128 v[120:123], v255 offset:1120
	ds_read_b128 v[124:127], v255 offset:2240
	;; [unrolled: 1-line block ×12, first 2 shown]
.LBB0_15:
	s_or_b64 exec, exec, s[8:9]
	s_waitcnt lgkmcnt(1)
	v_add_f64 v[213:214], v[126:127], v[110:111]
	s_mov_b32 s22, 0x93053d00
	s_mov_b32 s23, 0xbfef11f4
	s_waitcnt lgkmcnt(0)
	v_add_f64 v[207:208], v[122:123], -v[114:115]
	s_mov_b32 s42, 0x4267c47c
	s_mov_b32 s43, 0xbfddbe06
	v_add_f64 v[189:190], v[120:121], v[112:113]
	v_add_f64 v[193:194], v[122:123], v[114:115]
	v_mul_f64 v[20:21], v[213:214], s[22:23]
	v_add_f64 v[225:226], v[126:127], -v[110:111]
	s_mov_b32 s8, 0xe00740e9
	v_mul_f64 v[0:1], v[207:208], s[42:43]
	s_mov_b32 s16, 0x42a4c3d2
	s_mov_b32 s9, 0x3fec55a7
	;; [unrolled: 1-line block ×3, first 2 shown]
	v_add_f64 v[203:204], v[120:121], -v[112:113]
	buffer_store_dword v20, off, s[52:55], 0 offset:116 ; 4-byte Folded Spill
	s_nop 0
	buffer_store_dword v21, off, s[52:55], 0 offset:120 ; 4-byte Folded Spill
	v_mul_f64 v[2:3], v[193:194], s[8:9]
	v_add_f64 v[209:210], v[124:125], v[108:109]
	v_fma_f64 v[156:157], v[189:190], s[8:9], -v[0:1]
	v_mul_f64 v[8:9], v[225:226], s[16:17]
	s_mov_b32 s10, 0x1ea71119
	s_mov_b32 s11, 0x3fe22d96
	v_mul_f64 v[4:5], v[207:208], s[16:17]
	v_add_f64 v[229:230], v[124:125], -v[108:109]
	v_fma_f64 v[158:159], v[203:204], s[42:43], v[2:3]
	v_mul_f64 v[10:11], v[213:214], s[10:11]
	v_add_f64 v[156:157], v[116:117], v[156:157]
	v_fma_f64 v[168:169], v[209:210], s[10:11], -v[8:9]
	s_mov_b32 s28, 0x2ef20147
	s_mov_b32 s29, 0xbfedeba7
	v_mul_f64 v[12:13], v[193:194], s[10:11]
	v_fma_f64 v[160:161], v[189:190], s[10:11], -v[4:5]
	v_add_f64 v[158:159], v[118:119], v[158:159]
	v_mul_f64 v[14:15], v[225:226], s[28:29]
	s_mov_b32 s20, 0x66966769
	v_add_f64 v[156:157], v[168:169], v[156:157]
	v_fma_f64 v[168:169], v[229:230], s[16:17], v[10:11]
	s_mov_b32 s24, 0xb2365da1
	s_mov_b32 s21, 0xbfefc445
	;; [unrolled: 1-line block ×3, first 2 shown]
	v_add_f64 v[160:161], v[116:117], v[160:161]
	v_fma_f64 v[162:163], v[203:204], s[16:17], v[12:13]
	v_mul_f64 v[6:7], v[207:208], s[20:21]
	v_mul_f64 v[16:17], v[213:214], s[24:25]
	v_add_f64 v[158:159], v[168:169], v[158:159]
	v_fma_f64 v[168:169], v[209:210], s[24:25], -v[14:15]
	s_mov_b32 s18, 0xebaa3ed8
	s_mov_b32 s19, 0x3fbedb7d
	;; [unrolled: 1-line block ×4, first 2 shown]
	v_add_f64 v[162:163], v[118:119], v[162:163]
	v_fma_f64 v[164:165], v[189:190], s[18:19], -v[6:7]
	v_mul_f64 v[18:19], v[225:226], s[26:27]
	v_add_f64 v[160:161], v[168:169], v[160:161]
	v_fma_f64 v[168:169], v[229:230], s[28:29], v[16:17]
	v_add_f64 v[251:252], v[130:131], -v[106:107]
	v_add_f64 v[237:238], v[130:131], v[106:107]
	v_mul_f64 v[172:173], v[193:194], s[18:19]
	v_add_f64 v[231:232], v[128:129], v[104:105]
	v_add_f64 v[164:165], v[116:117], v[164:165]
	v_add_f64 v[239:240], v[128:129], -v[104:105]
	s_mov_b32 s31, 0x3fedeba7
	v_add_f64 v[162:163], v[168:169], v[162:163]
	v_fma_f64 v[168:169], v[209:210], s[22:23], -v[18:19]
	v_mul_f64 v[170:171], v[237:238], s[18:19]
	v_fma_f64 v[166:167], v[203:204], s[20:21], v[172:173]
	s_mov_b32 s30, s28
	v_add_f64 v[184:185], v[134:135], -v[154:155]
	v_add_f64 v[174:175], v[134:135], v[154:155]
	v_add_f64 v[247:248], v[132:133], v[152:153]
	s_mov_b32 s40, 0x24c2f84
	v_add_f64 v[164:165], v[168:169], v[164:165]
	s_mov_b32 s41, 0x3fe5384d
	v_add_f64 v[166:167], v[118:119], v[166:167]
	v_add_f64 v[253:254], v[132:133], -v[152:153]
	s_mov_b32 s34, 0xd0032e0c
	s_mov_b32 s35, 0xbfe7f3cc
	;; [unrolled: 1-line block ×4, first 2 shown]
	v_add_f64 v[205:206], v[138:139], -v[150:151]
	s_mov_b32 s45, 0xbfe5384d
	s_mov_b32 s44, s40
	v_add_f64 v[199:200], v[138:139], v[150:151]
	v_add_f64 v[186:187], v[136:137], v[148:149]
	v_add_f64 v[195:196], v[136:137], -v[148:149]
	s_mov_b32 s47, 0x3fefc445
	s_mov_b32 s46, s20
	v_mul_f64 v[176:177], v[205:206], s[16:17]
	v_add_f64 v[221:222], v[142:143], -v[146:147]
	v_add_f64 v[215:216], v[140:141], v[144:145]
	v_mul_f64 v[182:183], v[199:200], s[10:11]
	v_add_f64 v[219:220], v[142:143], v[146:147]
	v_add_f64 v[217:218], v[140:141], -v[144:145]
	v_fma_f64 v[168:169], v[229:230], s[26:27], v[20:21]
	v_mul_f64 v[20:21], v[251:252], s[20:21]
	v_mul_f64 v[178:179], v[221:222], s[26:27]
	;; [unrolled: 1-line block ×7, first 2 shown]
	buffer_store_dword v20, off, s[52:55], 0 offset:76 ; 4-byte Folded Spill
	s_nop 0
	buffer_store_dword v21, off, s[52:55], 0 offset:80 ; 4-byte Folded Spill
	buffer_store_dword v170, off, s[52:55], 0 offset:84 ; 4-byte Folded Spill
	s_nop 0
	buffer_store_dword v171, off, s[52:55], 0 offset:88 ; 4-byte Folded Spill
	v_add_f64 v[166:167], v[168:169], v[166:167]
	v_fma_f64 v[168:169], v[231:232], s[18:19], -v[20:21]
	v_mul_f64 v[20:21], v[251:252], s[26:27]
	buffer_store_dword v20, off, s[52:55], 0 offset:92 ; 4-byte Folded Spill
	s_nop 0
	buffer_store_dword v21, off, s[52:55], 0 offset:96 ; 4-byte Folded Spill
	v_add_f64 v[156:157], v[168:169], v[156:157]
	v_fma_f64 v[168:169], v[239:240], s[20:21], v[170:171]
	v_mul_f64 v[170:171], v[237:238], s[22:23]
	buffer_store_dword v170, off, s[52:55], 0 offset:100 ; 4-byte Folded Spill
	s_nop 0
	buffer_store_dword v171, off, s[52:55], 0 offset:104 ; 4-byte Folded Spill
	v_add_f64 v[158:159], v[168:169], v[158:159]
	v_fma_f64 v[168:169], v[231:232], s[22:23], -v[20:21]
	v_mul_f64 v[20:21], v[251:252], s[30:31]
	buffer_store_dword v20, off, s[52:55], 0 offset:108 ; 4-byte Folded Spill
	s_nop 0
	buffer_store_dword v21, off, s[52:55], 0 offset:112 ; 4-byte Folded Spill
	v_add_f64 v[160:161], v[168:169], v[160:161]
	v_fma_f64 v[168:169], v[239:240], s[26:27], v[170:171]
	v_mul_f64 v[170:171], v[237:238], s[24:25]
	;; [unrolled: 12-line block ×6, first 2 shown]
	buffer_store_dword v170, off, s[52:55], 0 offset:188 ; 4-byte Folded Spill
	s_nop 0
	buffer_store_dword v171, off, s[52:55], 0 offset:192 ; 4-byte Folded Spill
	v_add_f64 v[166:167], v[168:169], v[166:167]
	v_fma_f64 v[168:169], v[186:187], s[34:35], -v[20:21]
	v_mul_f64 v[20:21], v[199:200], s[18:19]
	v_add_f64 v[156:157], v[168:169], v[156:157]
	v_fma_f64 v[168:169], v[195:196], s[44:45], v[170:171]
	v_add_f64 v[158:159], v[168:169], v[158:159]
	v_mul_f64 v[168:169], v[205:206], s[46:47]
	buffer_store_dword v168, off, s[52:55], 0 offset:196 ; 4-byte Folded Spill
	s_nop 0
	buffer_store_dword v169, off, s[52:55], 0 offset:200 ; 4-byte Folded Spill
	s_waitcnt vmcnt(0)
	s_barrier
	v_fma_f64 v[168:169], v[186:187], s[18:19], -v[168:169]
	v_add_f64 v[168:169], v[168:169], v[160:161]
	v_fma_f64 v[160:161], v[195:196], s[46:47], v[20:21]
	v_add_f64 v[170:171], v[160:161], v[162:163]
	v_fma_f64 v[160:161], v[186:187], s[10:11], -v[176:177]
	v_add_f64 v[164:165], v[160:161], v[164:165]
	v_fma_f64 v[160:161], v[195:196], s[16:17], v[182:183]
	v_add_f64 v[166:167], v[160:161], v[166:167]
	;; [unrolled: 4-line block ×3, first 2 shown]
	v_fma_f64 v[156:157], v[215:216], s[8:9], -v[191:192]
	v_fma_f64 v[158:159], v[217:218], s[38:39], v[197:198]
	v_add_f64 v[156:157], v[156:157], v[168:169]
	v_fma_f64 v[168:169], v[215:216], s[34:35], -v[201:202]
	v_add_f64 v[158:159], v[158:159], v[170:171]
	v_add_f64 v[164:165], v[168:169], v[164:165]
	v_fma_f64 v[168:169], v[217:218], s[44:45], v[211:212]
	v_add_f64 v[166:167], v[168:169], v[166:167]
	s_and_saveexec_b64 s[36:37], s[0:1]
	s_cbranch_execz .LBB0_17
; %bb.16:
	v_mul_f64 v[168:169], v[189:190], s[8:9]
	v_mul_f64 v[170:171], v[203:204], s[26:27]
	v_add_f64 v[120:121], v[116:117], v[120:121]
	v_add_f64 v[122:123], v[118:119], v[122:123]
	buffer_store_dword v168, off, s[52:55], 0 offset:280 ; 4-byte Folded Spill
	s_nop 0
	buffer_store_dword v169, off, s[52:55], 0 offset:284 ; 4-byte Folded Spill
	v_mul_f64 v[168:169], v[203:204], s[42:43]
	s_mov_b32 s43, 0x3fea55e2
	s_mov_b32 s42, s16
	v_add_f64 v[120:121], v[120:121], v[124:125]
	v_add_f64 v[122:123], v[122:123], v[126:127]
	buffer_store_dword v168, off, s[52:55], 0 offset:312 ; 4-byte Folded Spill
	s_nop 0
	buffer_store_dword v169, off, s[52:55], 0 offset:316 ; 4-byte Folded Spill
	v_mul_f64 v[168:169], v[189:190], s[10:11]
	buffer_store_dword v168, off, s[52:55], 0 offset:288 ; 4-byte Folded Spill
	s_nop 0
	buffer_store_dword v169, off, s[52:55], 0 offset:292 ; 4-byte Folded Spill
	v_mul_f64 v[168:169], v[203:204], s[16:17]
	v_add_f64 v[122:123], v[122:123], v[130:131]
	v_add_f64 v[120:121], v[120:121], v[128:129]
	buffer_store_dword v168, off, s[52:55], 0 offset:384 ; 4-byte Folded Spill
	s_nop 0
	buffer_store_dword v169, off, s[52:55], 0 offset:388 ; 4-byte Folded Spill
	v_mul_f64 v[168:169], v[189:190], s[18:19]
	v_add_f64 v[122:123], v[122:123], v[134:135]
	v_add_f64 v[120:121], v[120:121], v[132:133]
	;; [unrolled: 6-line block ×9, first 2 shown]
	buffer_store_dword v168, off, s[52:55], 0 offset:272 ; 4-byte Folded Spill
	s_nop 0
	buffer_store_dword v169, off, s[52:55], 0 offset:276 ; 4-byte Folded Spill
	buffer_store_dword v227, off, s[52:55], 0 offset:204 ; 4-byte Folded Spill
	;; [unrolled: 1-line block ×4, first 2 shown]
	s_nop 0
	buffer_store_dword v234, off, s[52:55], 0 offset:216 ; 4-byte Folded Spill
	buffer_store_dword v235, off, s[52:55], 0 offset:220 ; 4-byte Folded Spill
	;; [unrolled: 1-line block ×6, first 2 shown]
	s_nop 0
	buffer_store_dword v242, off, s[52:55], 0 offset:260 ; 4-byte Folded Spill
	buffer_store_dword v243, off, s[52:55], 0 offset:264 ; 4-byte Folded Spill
	;; [unrolled: 1-line block ×4, first 2 shown]
	s_nop 0
	buffer_store_dword v19, off, s[52:55], 0 offset:380 ; 4-byte Folded Spill
	buffer_store_dword v16, off, s[52:55], 0 offset:400 ; 4-byte Folded Spill
	s_nop 0
	buffer_store_dword v17, off, s[52:55], 0 offset:404 ; 4-byte Folded Spill
	v_mul_f64 v[233:234], v[207:208], s[26:27]
	v_mul_f64 v[241:242], v[229:230], s[38:39]
	v_mov_b32_e32 v19, v245
	v_mov_b32_e32 v17, v246
	v_fma_f64 v[245:246], v[193:194], s[22:23], v[170:171]
	buffer_store_dword v100, off, s[52:55], 0 offset:240 ; 4-byte Folded Spill
	s_nop 0
	buffer_store_dword v101, off, s[52:55], 0 offset:244 ; 4-byte Folded Spill
	buffer_store_dword v102, off, s[52:55], 0 offset:248 ; 4-byte Folded Spill
	;; [unrolled: 1-line block ×5, first 2 shown]
	s_nop 0
	buffer_store_dword v1, off, s[52:55], 0 offset:348 ; 4-byte Folded Spill
	buffer_store_dword v2, off, s[52:55], 0 offset:360 ; 4-byte Folded Spill
	s_nop 0
	buffer_store_dword v3, off, s[52:55], 0 offset:364 ; 4-byte Folded Spill
	buffer_store_dword v4, off, s[52:55], 0 offset:352 ; 4-byte Folded Spill
	;; [unrolled: 3-line block ×5, first 2 shown]
	s_nop 0
	buffer_store_dword v11, off, s[52:55], 0 offset:396 ; 4-byte Folded Spill
	v_mul_f64 v[100:101], v[239:240], s[44:45]
	v_mul_f64 v[102:103], v[225:226], s[38:39]
	v_fma_f64 v[0:1], v[189:190], s[22:23], -v[233:234]
	v_fma_f64 v[4:5], v[213:214], s[8:9], v[241:242]
	v_fma_f64 v[6:7], v[193:194], s[22:23], -v[170:171]
	v_add_f64 v[170:171], v[118:119], v[245:246]
	v_fma_f64 v[10:11], v[189:190], s[22:23], v[233:234]
	v_mul_f64 v[235:236], v[253:254], s[42:43]
	v_fma_f64 v[245:246], v[237:238], s[34:35], v[100:101]
	v_fma_f64 v[8:9], v[209:210], s[8:9], -v[102:103]
	v_add_f64 v[0:1], v[116:117], v[0:1]
	v_mul_f64 v[233:234], v[251:252], s[44:45]
	v_fma_f64 v[241:242], v[213:214], s[8:9], -v[241:242]
	v_add_f64 v[6:7], v[118:119], v[6:7]
	v_add_f64 v[4:5], v[4:5], v[170:171]
	v_fma_f64 v[102:103], v[209:210], s[8:9], v[102:103]
	v_add_f64 v[10:11], v[116:117], v[10:11]
	v_mul_f64 v[227:228], v[195:196], s[28:29]
	v_fma_f64 v[2:3], v[174:175], s[10:11], v[235:236]
	v_mul_f64 v[170:171], v[184:185], s[42:43]
	v_add_f64 v[0:1], v[8:9], v[0:1]
	v_fma_f64 v[8:9], v[231:232], s[34:35], -v[233:234]
	v_fma_f64 v[100:101], v[237:238], s[34:35], -v[100:101]
	v_add_f64 v[6:7], v[241:242], v[6:7]
	v_add_f64 v[4:5], v[245:246], v[4:5]
	v_fma_f64 v[233:234], v[231:232], s[34:35], v[233:234]
	v_add_f64 v[10:11], v[102:103], v[10:11]
	v_mul_f64 v[168:169], v[217:218], s[46:47]
	v_mov_b32_e32 v16, v249
	v_fma_f64 v[249:250], v[199:200], s[24:25], v[227:228]
	v_mul_f64 v[241:242], v[205:206], s[28:29]
	v_fma_f64 v[102:103], v[247:248], s[10:11], -v[170:171]
	v_add_f64 v[0:1], v[8:9], v[0:1]
	v_fma_f64 v[8:9], v[174:175], s[10:11], -v[235:236]
	v_add_f64 v[6:7], v[100:101], v[6:7]
	v_add_f64 v[2:3], v[2:3], v[4:5]
	v_fma_f64 v[100:101], v[247:248], s[10:11], v[170:171]
	v_add_f64 v[10:11], v[233:234], v[10:11]
	v_fma_f64 v[243:244], v[219:220], s[18:19], v[168:169]
	v_mul_f64 v[4:5], v[221:222], s[46:47]
	v_fma_f64 v[170:171], v[186:187], s[24:25], -v[241:242]
	v_add_f64 v[0:1], v[102:103], v[0:1]
	v_fma_f64 v[102:103], v[199:200], s[24:25], -v[227:228]
	v_add_f64 v[6:7], v[8:9], v[6:7]
	v_add_f64 v[2:3], v[249:250], v[2:3]
	v_fma_f64 v[8:9], v[186:187], s[24:25], v[241:242]
	v_mul_f64 v[227:228], v[203:204], s[44:45]
	v_add_f64 v[10:11], v[100:101], v[10:11]
	v_fma_f64 v[100:101], v[215:216], s[18:19], -v[4:5]
	v_add_f64 v[0:1], v[170:171], v[0:1]
	v_fma_f64 v[233:234], v[219:220], s[18:19], -v[168:169]
	v_add_f64 v[6:7], v[102:103], v[6:7]
	v_fma_f64 v[4:5], v[215:216], s[18:19], v[4:5]
	v_mul_f64 v[102:103], v[229:230], s[46:47]
	v_fma_f64 v[241:242], v[193:194], s[34:35], v[227:228]
	v_add_f64 v[8:9], v[8:9], v[10:11]
	v_add_f64 v[170:171], v[243:244], v[2:3]
	v_mul_f64 v[2:3], v[207:208], s[44:45]
	v_mul_f64 v[22:23], v[229:230], s[28:29]
	v_add_f64 v[168:169], v[100:101], v[0:1]
	v_add_f64 v[235:236], v[233:234], v[6:7]
	v_mul_f64 v[0:1], v[239:240], s[16:17]
	v_fma_f64 v[6:7], v[213:214], s[18:19], v[102:103]
	v_add_f64 v[10:11], v[118:119], v[241:242]
	v_add_f64 v[233:234], v[4:5], v[8:9]
	v_mul_f64 v[4:5], v[225:226], s[46:47]
	v_fma_f64 v[8:9], v[189:190], s[34:35], -v[2:3]
	v_fma_f64 v[100:101], v[193:194], s[34:35], -v[227:228]
	buffer_store_dword v22, off, s[52:55], 0 offset:432 ; 4-byte Folded Spill
	s_nop 0
	buffer_store_dword v23, off, s[52:55], 0 offset:436 ; 4-byte Folded Spill
	s_mov_b32 s27, 0x3fcea1e5
	buffer_load_dword v22, off, s[52:55], 0 offset:424 ; 4-byte Folded Reload
	buffer_load_dword v23, off, s[52:55], 0 offset:428 ; 4-byte Folded Reload
	v_mul_f64 v[227:228], v[253:254], s[26:27]
	v_fma_f64 v[241:242], v[237:238], s[10:11], v[0:1]
	v_add_f64 v[6:7], v[6:7], v[10:11]
	v_mul_f64 v[10:11], v[251:252], s[16:17]
	v_fma_f64 v[243:244], v[209:210], s[18:19], -v[4:5]
	v_add_f64 v[8:9], v[116:117], v[8:9]
	v_fma_f64 v[102:103], v[213:214], s[18:19], -v[102:103]
	v_add_f64 v[100:101], v[118:119], v[100:101]
	v_fma_f64 v[2:3], v[189:190], s[34:35], v[2:3]
	v_mul_f64 v[249:250], v[195:196], s[38:39]
	v_add_f64 v[6:7], v[241:242], v[6:7]
	v_fma_f64 v[241:242], v[174:175], s[22:23], v[227:228]
	v_fma_f64 v[4:5], v[209:210], s[18:19], v[4:5]
	v_add_f64 v[8:9], v[243:244], v[8:9]
	v_fma_f64 v[243:244], v[231:232], s[10:11], -v[10:11]
	v_add_f64 v[100:101], v[102:103], v[100:101]
	v_add_f64 v[2:3], v[116:117], v[2:3]
	v_mul_f64 v[102:103], v[184:185], s[26:27]
	v_fma_f64 v[0:1], v[237:238], s[10:11], -v[0:1]
	v_add_f64 v[6:7], v[241:242], v[6:7]
	v_fma_f64 v[241:242], v[199:200], s[8:9], v[249:250]
	v_fma_f64 v[10:11], v[231:232], s[10:11], v[10:11]
	v_add_f64 v[8:9], v[243:244], v[8:9]
	v_mul_f64 v[243:244], v[217:218], s[28:29]
	v_add_f64 v[2:3], v[4:5], v[2:3]
	v_fma_f64 v[4:5], v[247:248], s[22:23], -v[102:103]
	v_add_f64 v[0:1], v[0:1], v[100:101]
	v_mul_f64 v[100:101], v[205:206], s[38:39]
	v_fma_f64 v[227:228], v[174:175], s[22:23], -v[227:228]
	v_add_f64 v[6:7], v[241:242], v[6:7]
	v_fma_f64 v[102:103], v[247:248], s[22:23], v[102:103]
	v_mul_f64 v[241:242], v[221:222], s[28:29]
	v_add_f64 v[2:3], v[10:11], v[2:3]
	v_fma_f64 v[10:11], v[219:220], s[24:25], v[243:244]
	v_add_f64 v[4:5], v[4:5], v[8:9]
	v_fma_f64 v[8:9], v[186:187], s[8:9], -v[100:101]
	v_add_f64 v[0:1], v[227:228], v[0:1]
	v_fma_f64 v[227:228], v[199:200], s[8:9], -v[249:250]
	v_mul_f64 v[203:204], v[203:204], s[28:29]
	v_mul_f64 v[207:208], v[207:208], s[28:29]
	v_add_f64 v[2:3], v[102:103], v[2:3]
	v_mul_f64 v[102:103], v[229:230], s[40:41]
	v_add_f64 v[229:230], v[10:11], v[6:7]
	v_add_f64 v[4:5], v[8:9], v[4:5]
	v_fma_f64 v[6:7], v[215:216], s[24:25], -v[241:242]
	v_add_f64 v[0:1], v[227:228], v[0:1]
	v_fma_f64 v[10:11], v[219:220], s[24:25], -v[243:244]
	v_fma_f64 v[100:101], v[186:187], s[8:9], v[100:101]
	v_fma_f64 v[8:9], v[193:194], s[24:25], v[203:204]
	v_fma_f64 v[193:194], v[193:194], s[24:25], -v[203:204]
	v_mul_f64 v[249:250], v[239:240], s[38:39]
	v_mov_b32_e32 v18, v224
	v_add_f64 v[227:228], v[6:7], v[4:5]
	v_fma_f64 v[6:7], v[189:190], s[24:25], -v[207:208]
	v_add_f64 v[243:244], v[10:11], v[0:1]
	v_mul_f64 v[0:1], v[225:226], s[40:41]
	v_add_f64 v[2:3], v[100:101], v[2:3]
	v_fma_f64 v[100:101], v[213:214], s[34:35], v[102:103]
	v_add_f64 v[8:9], v[118:119], v[8:9]
	v_mul_f64 v[4:5], v[253:254], s[20:21]
	v_mul_f64 v[224:225], v[251:252], s[38:39]
	v_add_f64 v[6:7], v[116:117], v[6:7]
	v_fma_f64 v[102:103], v[213:214], s[34:35], -v[102:103]
	v_fma_f64 v[203:204], v[209:210], s[34:35], -v[0:1]
	v_add_f64 v[193:194], v[118:119], v[193:194]
	v_fma_f64 v[10:11], v[237:238], s[8:9], v[249:250]
	v_add_f64 v[8:9], v[100:101], v[8:9]
	v_fma_f64 v[100:101], v[174:175], s[18:19], v[4:5]
	v_mul_f64 v[184:185], v[184:185], s[20:21]
	v_fma_f64 v[237:238], v[237:238], s[8:9], -v[249:250]
	v_fma_f64 v[4:5], v[174:175], s[18:19], -v[4:5]
	v_add_f64 v[6:7], v[203:204], v[6:7]
	v_fma_f64 v[203:204], v[231:232], s[8:9], -v[224:225]
	v_add_f64 v[102:103], v[102:103], v[193:194]
	v_fma_f64 v[174:175], v[189:190], s[24:25], v[207:208]
	v_fma_f64 v[0:1], v[209:210], s[34:35], v[0:1]
	v_fma_f64 v[193:194], v[247:248], s[18:19], -v[184:185]
	v_mul_f64 v[245:246], v[209:210], s[22:23]
	v_add_f64 v[8:9], v[10:11], v[8:9]
	v_mul_f64 v[209:210], v[217:218], s[42:43]
	v_add_f64 v[6:7], v[203:204], v[6:7]
	;; [unrolled: 2-line block ×3, first 2 shown]
	v_add_f64 v[174:175], v[116:117], v[174:175]
	v_fma_f64 v[224:225], v[231:232], s[8:9], v[224:225]
	v_mul_f64 v[249:250], v[247:248], s[24:25]
	v_mul_f64 v[189:190], v[247:248], s[34:35]
	v_fma_f64 v[184:185], v[247:248], s[18:19], v[184:185]
	v_add_f64 v[6:7], v[193:194], v[6:7]
	v_fma_f64 v[193:194], v[199:200], s[22:23], v[203:204]
	v_fma_f64 v[199:200], v[199:200], s[22:23], -v[203:204]
	v_add_f64 v[4:5], v[4:5], v[102:103]
	v_add_f64 v[0:1], v[0:1], v[174:175]
	v_mul_f64 v[203:204], v[247:248], s[8:9]
	s_waitcnt vmcnt(0)
	v_add_f64 v[247:248], v[172:173], -v[22:23]
	v_mov_b32_e32 v23, v15
	v_add_f64 v[8:9], v[100:101], v[8:9]
	v_mul_f64 v[205:206], v[205:206], s[26:27]
	v_fma_f64 v[174:175], v[219:220], s[10:11], -v[209:210]
	v_add_f64 v[4:5], v[199:200], v[4:5]
	v_add_f64 v[0:1], v[224:225], v[0:1]
	v_mov_b32_e32 v22, v14
	v_mul_f64 v[14:15], v[221:222], s[42:43]
	v_fma_f64 v[241:242], v[215:216], s[24:25], v[241:242]
	v_mul_f64 v[251:252], v[253:254], s[28:29]
	v_mul_f64 v[207:208], v[253:254], s[40:41]
	;; [unrolled: 1-line block ×4, first 2 shown]
	v_fma_f64 v[253:254], v[219:220], s[10:11], v[209:210]
	v_mul_f64 v[209:210], v[186:187], s[18:19]
	v_fma_f64 v[219:220], v[186:187], s[22:23], -v[205:206]
	v_mul_f64 v[224:225], v[186:187], s[10:11]
	v_mul_f64 v[172:173], v[215:216], s[22:23]
	v_add_f64 v[8:9], v[193:194], v[8:9]
	v_mul_f64 v[193:194], v[215:216], s[8:9]
	v_fma_f64 v[186:187], v[186:187], s[22:23], v[205:206]
	v_mul_f64 v[205:206], v[215:216], s[34:35]
	v_add_f64 v[0:1], v[184:185], v[0:1]
	v_fma_f64 v[184:185], v[215:216], s[10:11], -v[14:15]
	v_add_f64 v[174:175], v[174:175], v[4:5]
	buffer_load_dword v4, off, s[52:55], 0 offset:116 ; 4-byte Folded Reload
	buffer_load_dword v5, off, s[52:55], 0 offset:120 ; 4-byte Folded Reload
	;; [unrolled: 1-line block ×4, first 2 shown]
	v_fma_f64 v[14:15], v[215:216], s[10:11], v[14:15]
	buffer_load_dword v215, off, s[52:55], 0 offset:384 ; 4-byte Folded Reload
	buffer_load_dword v216, off, s[52:55], 0 offset:388 ; 4-byte Folded Reload
	v_mul_f64 v[10:11], v[239:240], s[20:21]
	v_mul_f64 v[239:240], v[239:240], s[30:31]
	v_add_f64 v[0:1], v[186:187], v[0:1]
	v_mul_f64 v[100:101], v[231:232], s[24:25]
	v_mul_f64 v[199:200], v[195:196], s[46:47]
	;; [unrolled: 1-line block ×3, first 2 shown]
	v_add_f64 v[241:242], v[241:242], v[2:3]
	v_mul_f64 v[2:3], v[231:232], s[18:19]
	v_mul_f64 v[231:232], v[195:196], s[44:45]
	;; [unrolled: 1-line block ×3, first 2 shown]
	v_add_f64 v[122:123], v[193:194], v[191:192]
	v_add_f64 v[6:7], v[219:220], v[6:7]
	v_mul_f64 v[219:220], v[217:218], s[38:39]
	v_mul_f64 v[217:218], v[217:218], s[44:45]
	v_add_f64 v[120:121], v[120:121], v[114:115]
	v_add_f64 v[128:129], v[182:183], -v[195:196]
	v_add_f64 v[132:133], v[211:212], -v[217:218]
	s_waitcnt vmcnt(2)
	v_add_f64 v[4:5], v[4:5], -v[221:222]
	v_add_f64 v[221:222], v[118:119], v[247:248]
	s_waitcnt vmcnt(0)
	v_add_f64 v[215:216], v[12:13], -v[215:216]
	buffer_load_dword v12, off, s[52:55], 0 offset:132 ; 4-byte Folded Reload
	buffer_load_dword v13, off, s[52:55], 0 offset:136 ; 4-byte Folded Reload
	v_add_f64 v[4:5], v[4:5], v[221:222]
	v_add_f64 v[215:216], v[118:119], v[215:216]
	s_waitcnt vmcnt(0)
	v_add_f64 v[186:187], v[12:13], -v[239:240]
	buffer_load_dword v12, off, s[52:55], 0 offset:328 ; 4-byte Folded Reload
	buffer_load_dword v13, off, s[52:55], 0 offset:332 ; 4-byte Folded Reload
	;; [unrolled: 1-line block ×4, first 2 shown]
	v_add_f64 v[4:5], v[186:187], v[4:5]
	s_waitcnt vmcnt(0)
	v_add_f64 v[239:240], v[12:13], v[239:240]
	buffer_load_dword v12, off, s[52:55], 0 offset:400 ; 4-byte Folded Reload
	buffer_load_dword v13, off, s[52:55], 0 offset:404 ; 4-byte Folded Reload
	;; [unrolled: 1-line block ×4, first 2 shown]
	s_waitcnt vmcnt(0)
	v_add_f64 v[221:222], v[12:13], -v[221:222]
	buffer_load_dword v12, off, s[52:55], 0 offset:180 ; 4-byte Folded Reload
	buffer_load_dword v13, off, s[52:55], 0 offset:184 ; 4-byte Folded Reload
	v_add_f64 v[215:216], v[221:222], v[215:216]
	s_waitcnt vmcnt(0)
	v_add_f64 v[124:125], v[12:13], -v[237:238]
	buffer_load_dword v12, off, s[52:55], 0 offset:376 ; 4-byte Folded Reload
	buffer_load_dword v13, off, s[52:55], 0 offset:380 ; 4-byte Folded Reload
	v_add_f64 v[237:238], v[116:117], v[239:240]
	v_add_f64 v[4:5], v[124:125], v[4:5]
	;; [unrolled: 1-line block ×5, first 2 shown]
	s_waitcnt vmcnt(0)
	v_add_f64 v[126:127], v[245:246], v[12:13]
	buffer_load_dword v12, off, s[52:55], 0 offset:100 ; 4-byte Folded Reload
	buffer_load_dword v13, off, s[52:55], 0 offset:104 ; 4-byte Folded Reload
	;; [unrolled: 1-line block ×4, first 2 shown]
	v_mov_b32_e32 v246, v17
	v_mov_b32_e32 v245, v19
	v_add_f64 v[126:127], v[126:127], v[237:238]
	s_waitcnt vmcnt(0)
	v_add_f64 v[186:187], v[12:13], -v[186:187]
	buffer_load_dword v12, off, s[52:55], 0 offset:108 ; 4-byte Folded Reload
	buffer_load_dword v13, off, s[52:55], 0 offset:112 ; 4-byte Folded Reload
	v_add_f64 v[130:131], v[186:187], v[215:216]
	s_waitcnt vmcnt(0)
	v_add_f64 v[100:101], v[100:101], v[12:13]
	buffer_load_dword v12, off, s[52:55], 0 offset:156 ; 4-byte Folded Reload
	buffer_load_dword v13, off, s[52:55], 0 offset:160 ; 4-byte Folded Reload
	v_add_f64 v[100:101], v[100:101], v[126:127]
	v_add_f64 v[126:127], v[20:21], -v[199:200]
	s_waitcnt vmcnt(0)
	v_add_f64 v[124:125], v[12:13], -v[207:208]
	buffer_load_dword v12, off, s[52:55], 0 offset:164 ; 4-byte Folded Reload
	buffer_load_dword v13, off, s[52:55], 0 offset:168 ; 4-byte Folded Reload
	v_add_f64 v[124:125], v[124:125], v[130:131]
	v_add_f64 v[130:131], v[224:225], v[176:177]
	v_mov_b32_e32 v224, v18
	v_add_f64 v[124:125], v[126:127], v[124:125]
	s_waitcnt vmcnt(0)
	v_add_f64 v[134:135], v[203:204], v[12:13]
	buffer_load_dword v12, off, s[52:55], 0 offset:312 ; 4-byte Folded Reload
	buffer_load_dword v13, off, s[52:55], 0 offset:316 ; 4-byte Folded Reload
	;; [unrolled: 1-line block ×4, first 2 shown]
	v_add_f64 v[100:101], v[134:135], v[100:101]
	v_add_f64 v[134:135], v[197:198], -v[219:220]
	v_add_f64 v[100:101], v[130:131], v[100:101]
	v_add_f64 v[110:111], v[134:135], v[124:125]
	;; [unrolled: 1-line block ×3, first 2 shown]
	s_waitcnt vmcnt(0)
	v_add_f64 v[136:137], v[17:18], -v[12:13]
	buffer_load_dword v12, off, s[52:55], 0 offset:280 ; 4-byte Folded Reload
	buffer_load_dword v13, off, s[52:55], 0 offset:284 ; 4-byte Folded Reload
	;; [unrolled: 1-line block ×4, first 2 shown]
	v_add_f64 v[118:119], v[118:119], v[136:137]
	s_waitcnt vmcnt(0)
	v_add_f64 v[126:127], v[12:13], v[17:18]
	buffer_load_dword v12, off, s[52:55], 0 offset:288 ; 4-byte Folded Reload
	buffer_load_dword v13, off, s[52:55], 0 offset:292 ; 4-byte Folded Reload
	;; [unrolled: 1-line block ×4, first 2 shown]
	v_add_f64 v[126:127], v[116:117], v[126:127]
	s_waitcnt vmcnt(0)
	v_add_f64 v[138:139], v[12:13], v[17:18]
	buffer_load_dword v12, off, s[52:55], 0 offset:320 ; 4-byte Folded Reload
	buffer_load_dword v13, off, s[52:55], 0 offset:324 ; 4-byte Folded Reload
	v_add_f64 v[116:117], v[116:117], v[138:139]
	s_waitcnt vmcnt(0)
	v_add_f64 v[140:141], v[12:13], v[22:23]
	buffer_load_dword v12, off, s[52:55], 0 offset:304 ; 4-byte Folded Reload
	buffer_load_dword v13, off, s[52:55], 0 offset:308 ; 4-byte Folded Reload
	buffer_load_dword v17, off, s[52:55], 0 offset:392 ; 4-byte Folded Reload
	buffer_load_dword v18, off, s[52:55], 0 offset:396 ; 4-byte Folded Reload
	v_add_f64 v[116:117], v[140:141], v[116:117]
	s_waitcnt vmcnt(0)
	v_add_f64 v[142:143], v[17:18], -v[12:13]
	buffer_load_dword v12, off, s[52:55], 0 offset:296 ; 4-byte Folded Reload
	buffer_load_dword v13, off, s[52:55], 0 offset:300 ; 4-byte Folded Reload
	;; [unrolled: 1-line block ×4, first 2 shown]
	v_add_f64 v[118:119], v[142:143], v[118:119]
	s_waitcnt vmcnt(0)
	v_add_f64 v[136:137], v[12:13], v[17:18]
	buffer_load_dword v12, off, s[52:55], 0 offset:92 ; 4-byte Folded Reload
	buffer_load_dword v13, off, s[52:55], 0 offset:96 ; 4-byte Folded Reload
	v_add_f64 v[126:127], v[136:137], v[126:127]
	s_waitcnt vmcnt(0)
	v_add_f64 v[138:139], v[213:214], v[12:13]
	buffer_load_dword v12, off, s[52:55], 0 offset:84 ; 4-byte Folded Reload
	buffer_load_dword v13, off, s[52:55], 0 offset:88 ; 4-byte Folded Reload
	v_add_f64 v[116:117], v[138:139], v[116:117]
	s_waitcnt vmcnt(0)
	v_add_f64 v[10:11], v[12:13], -v[10:11]
	buffer_load_dword v12, off, s[52:55], 0 offset:76 ; 4-byte Folded Reload
	buffer_load_dword v13, off, s[52:55], 0 offset:80 ; 4-byte Folded Reload
	v_add_f64 v[10:11], v[10:11], v[118:119]
	s_waitcnt vmcnt(0)
	v_add_f64 v[2:3], v[2:3], v[12:13]
	buffer_load_dword v12, off, s[52:55], 0 offset:148 ; 4-byte Folded Reload
	buffer_load_dword v13, off, s[52:55], 0 offset:152 ; 4-byte Folded Reload
	v_add_f64 v[2:3], v[2:3], v[126:127]
	s_waitcnt vmcnt(0)
	v_add_f64 v[136:137], v[189:190], v[12:13]
	buffer_load_dword v12, off, s[52:55], 0 offset:140 ; 4-byte Folded Reload
	buffer_load_dword v13, off, s[52:55], 0 offset:144 ; 4-byte Folded Reload
	v_add_f64 v[116:117], v[136:137], v[116:117]
	s_waitcnt vmcnt(0)
	v_add_f64 v[140:141], v[12:13], -v[251:252]
	buffer_load_dword v12, off, s[52:55], 0 offset:124 ; 4-byte Folded Reload
	buffer_load_dword v13, off, s[52:55], 0 offset:128 ; 4-byte Folded Reload
	v_add_f64 v[10:11], v[140:141], v[10:11]
	s_waitcnt vmcnt(0)
	v_add_f64 v[118:119], v[249:250], v[12:13]
	buffer_load_dword v250, off, s[52:55], 0 offset:228 ; 4-byte Folded Reload
	buffer_load_dword v12, off, s[52:55], 0 offset:196 ; 4-byte Folded Reload
	;; [unrolled: 1-line block ×3, first 2 shown]
	v_mov_b32_e32 v249, v16
	v_add_f64 v[2:3], v[118:119], v[2:3]
	s_waitcnt vmcnt(0)
	v_add_f64 v[126:127], v[209:210], v[12:13]
	buffer_load_dword v12, off, s[52:55], 0 offset:188 ; 4-byte Folded Reload
	buffer_load_dword v13, off, s[52:55], 0 offset:192 ; 4-byte Folded Reload
	s_waitcnt vmcnt(0)
	v_add_f64 v[138:139], v[12:13], -v[231:232]
	buffer_load_dword v12, off, s[52:55], 0 offset:172 ; 4-byte Folded Reload
	buffer_load_dword v13, off, s[52:55], 0 offset:176 ; 4-byte Folded Reload
	v_add_f64 v[10:11], v[138:139], v[10:11]
	s_waitcnt vmcnt(0)
	v_add_f64 v[102:103], v[102:103], v[12:13]
	buffer_load_dword v12, off, s[52:55], 0 offset:272 ; 4-byte Folded Reload
	buffer_load_dword v13, off, s[52:55], 0 offset:276 ; 4-byte Folded Reload
	v_add_f64 v[2:3], v[102:103], v[2:3]
	v_add_f64 v[102:103], v[126:127], v[116:117]
	;; [unrolled: 1-line block ×4, first 2 shown]
	s_waitcnt vmcnt(0)
	v_add_f64 v[118:119], v[180:181], -v[12:13]
	v_add_f64 v[12:13], v[172:173], v[178:179]
	v_add_f64 v[172:173], v[14:15], v[0:1]
	;; [unrolled: 1-line block ×5, first 2 shown]
	buffer_load_dword v100, off, s[52:55], 0 offset:240 ; 4-byte Folded Reload
	buffer_load_dword v101, off, s[52:55], 0 offset:244 ; 4-byte Folded Reload
	;; [unrolled: 1-line block ×5, first 2 shown]
	v_add_f64 v[114:115], v[12:13], v[2:3]
	s_waitcnt vmcnt(0)
	v_lshl_add_u32 v0, v0, 4, v245
	ds_write_b128 v0, v[118:121]
	ds_write_b128 v0, v[114:117] offset:16
	ds_write_b128 v0, v[108:111] offset:32
	;; [unrolled: 1-line block ×5, first 2 shown]
	buffer_load_dword v241, off, s[52:55], 0 offset:256 ; 4-byte Folded Reload
	buffer_load_dword v242, off, s[52:55], 0 offset:260 ; 4-byte Folded Reload
	;; [unrolled: 1-line block ×6, first 2 shown]
	ds_write_b128 v0, v[233:236] offset:96
	buffer_load_dword v233, off, s[52:55], 0 offset:212 ; 4-byte Folded Reload
	buffer_load_dword v234, off, s[52:55], 0 offset:216 ; 4-byte Folded Reload
	;; [unrolled: 1-line block ×4, first 2 shown]
	ds_write_b128 v0, v[168:171] offset:112
	ds_write_b128 v0, v[227:230] offset:128
	buffer_load_dword v228, off, s[52:55], 0 offset:208 ; 4-byte Folded Reload
	buffer_load_dword v227, off, s[52:55], 0 offset:204 ; 4-byte Folded Reload
	ds_write_b128 v0, v[122:125] offset:144
	ds_write_b128 v0, v[164:167] offset:160
	;; [unrolled: 1-line block ×4, first 2 shown]
.LBB0_17:
	s_or_b64 exec, exec, s[36:37]
	s_waitcnt vmcnt(0) lgkmcnt(0)
	s_barrier
	ds_read_b128 v[104:107], v188 offset:7280
	ds_read_b128 v[108:111], v188
	ds_read_b128 v[112:115], v188 offset:1456
	ds_read_b128 v[116:119], v188 offset:8736
	;; [unrolled: 1-line block ×4, first 2 shown]
	s_waitcnt lgkmcnt(5)
	v_mul_f64 v[0:1], v[30:31], v[106:107]
	v_mul_f64 v[2:3], v[30:31], v[104:105]
	ds_read_b128 v[128:131], v188 offset:2912
	ds_read_b128 v[132:135], v188 offset:4368
	;; [unrolled: 1-line block ×4, first 2 shown]
	s_waitcnt lgkmcnt(5)
	v_mul_f64 v[8:9], v[38:39], v[122:123]
	v_mul_f64 v[10:11], v[38:39], v[120:121]
	s_waitcnt lgkmcnt(0)
	s_barrier
	v_fma_f64 v[0:1], v[28:29], v[104:105], v[0:1]
	v_fma_f64 v[2:3], v[28:29], v[106:107], -v[2:3]
	v_mul_f64 v[4:5], v[26:27], v[118:119]
	v_mul_f64 v[6:7], v[26:27], v[116:117]
	;; [unrolled: 1-line block ×5, first 2 shown]
	v_add_f64 v[104:105], v[108:109], -v[0:1]
	v_add_f64 v[106:107], v[110:111], -v[2:3]
	v_fma_f64 v[0:1], v[36:37], v[120:121], v[8:9]
	v_fma_f64 v[2:3], v[36:37], v[122:123], -v[10:11]
	v_fma_f64 v[4:5], v[24:25], v[116:117], v[4:5]
	v_fma_f64 v[6:7], v[24:25], v[118:119], -v[6:7]
	v_mul_f64 v[24:25], v[42:43], v[142:143]
	v_fma_f64 v[8:9], v[32:33], v[136:137], v[12:13]
	v_fma_f64 v[36:37], v[108:109], 2.0, -v[104:105]
	v_fma_f64 v[38:39], v[110:111], 2.0, -v[106:107]
	v_add_f64 v[108:109], v[128:129], -v[0:1]
	v_fma_f64 v[10:11], v[32:33], v[138:139], -v[14:15]
	ds_write_b128 v246, v[36:39]
	ds_write_b128 v246, v[104:107] offset:208
	buffer_load_dword v0, off, s[52:55], 0 offset:4 ; 4-byte Folded Reload
	v_fma_f64 v[12:13], v[40:41], v[140:141], v[24:25]
	v_fma_f64 v[14:15], v[40:41], v[142:143], -v[26:27]
	v_add_f64 v[40:41], v[112:113], -v[4:5]
	v_add_f64 v[42:43], v[114:115], -v[6:7]
	;; [unrolled: 1-line block ×5, first 2 shown]
	v_fma_f64 v[116:117], v[128:129], 2.0, -v[108:109]
	v_add_f64 v[32:33], v[124:125], -v[12:13]
	v_add_f64 v[34:35], v[126:127], -v[14:15]
	v_fma_f64 v[112:113], v[112:113], 2.0, -v[40:41]
	v_fma_f64 v[114:115], v[114:115], 2.0, -v[42:43]
	;; [unrolled: 1-line block ×5, first 2 shown]
	s_waitcnt vmcnt(0)
	ds_write_b128 v0, v[112:115]
	ds_write_b128 v0, v[40:43] offset:208
	buffer_load_dword v0, off, s[52:55], 0  ; 4-byte Folded Reload
	v_fma_f64 v[28:29], v[124:125], 2.0, -v[32:33]
	v_fma_f64 v[30:31], v[126:127], 2.0, -v[34:35]
	s_waitcnt vmcnt(0)
	ds_write_b128 v0, v[116:119]
	ds_write_b128 v0, v[108:111] offset:208
	ds_write_b128 v22, v[120:123]
	ds_write_b128 v22, v[24:27] offset:208
	;; [unrolled: 2-line block ×3, first 2 shown]
	s_waitcnt lgkmcnt(0)
	s_barrier
	ds_read_b128 v[36:39], v188
	ds_read_b128 v[120:123], v188 offset:2080
	ds_read_b128 v[116:119], v188 offset:4160
	;; [unrolled: 1-line block ×6, first 2 shown]
	s_and_saveexec_b64 s[8:9], s[2:3]
	s_cbranch_execz .LBB0_19
; %bb.18:
	ds_read_b128 v[24:27], v188 offset:1456
	ds_read_b128 v[28:31], v188 offset:3536
	;; [unrolled: 1-line block ×7, first 2 shown]
.LBB0_19:
	s_or_b64 exec, exec, s[8:9]
	s_waitcnt lgkmcnt(4)
	v_mul_f64 v[4:5], v[54:55], v[118:119]
	v_mul_f64 v[6:7], v[54:55], v[116:117]
	;; [unrolled: 1-line block ×4, first 2 shown]
	s_waitcnt lgkmcnt(0)
	v_mul_f64 v[8:9], v[66:67], v[114:115]
	v_mul_f64 v[10:11], v[66:67], v[112:113]
	v_mul_f64 v[12:13], v[50:51], v[106:107]
	v_mul_f64 v[14:15], v[50:51], v[104:105]
	v_fma_f64 v[4:5], v[52:53], v[116:117], v[4:5]
	v_fma_f64 v[6:7], v[52:53], v[118:119], -v[6:7]
	v_mul_f64 v[50:51], v[62:63], v[110:111]
	v_mul_f64 v[52:53], v[62:63], v[108:109]
	v_fma_f64 v[0:1], v[56:57], v[120:121], v[0:1]
	v_fma_f64 v[2:3], v[56:57], v[122:123], -v[2:3]
	v_mul_f64 v[54:55], v[46:47], v[42:43]
	v_mul_f64 v[46:47], v[46:47], v[40:41]
	v_fma_f64 v[8:9], v[64:65], v[112:113], v[8:9]
	v_fma_f64 v[10:11], v[64:65], v[114:115], -v[10:11]
	v_fma_f64 v[12:13], v[48:49], v[104:105], v[12:13]
	v_fma_f64 v[14:15], v[48:49], v[106:107], -v[14:15]
	;; [unrolled: 2-line block ×4, first 2 shown]
	v_add_f64 v[44:45], v[0:1], v[8:9]
	v_add_f64 v[46:47], v[2:3], v[10:11]
	v_add_f64 v[0:1], v[0:1], -v[8:9]
	v_add_f64 v[2:3], v[2:3], -v[10:11]
	v_add_f64 v[8:9], v[4:5], v[48:49]
	v_add_f64 v[10:11], v[6:7], v[50:51]
	v_add_f64 v[4:5], v[4:5], -v[48:49]
	v_add_f64 v[6:7], v[6:7], -v[50:51]
	;; [unrolled: 4-line block ×4, first 2 shown]
	v_add_f64 v[44:45], v[44:45], -v[48:49]
	v_add_f64 v[46:47], v[46:47], -v[50:51]
	;; [unrolled: 1-line block ×4, first 2 shown]
	v_add_f64 v[56:57], v[12:13], v[4:5]
	v_add_f64 v[58:59], v[14:15], v[6:7]
	v_add_f64 v[60:61], v[12:13], -v[4:5]
	v_add_f64 v[62:63], v[14:15], -v[6:7]
	v_add_f64 v[48:49], v[48:49], v[40:41]
	v_add_f64 v[50:51], v[50:51], v[42:43]
	v_add_f64 v[4:5], v[4:5], -v[0:1]
	v_add_f64 v[6:7], v[6:7], -v[2:3]
	s_mov_b32 s20, 0x37e14327
	s_mov_b32 s10, 0x36b3c0b5
	;; [unrolled: 1-line block ×7, first 2 shown]
	v_add_f64 v[12:13], v[0:1], -v[12:13]
	v_add_f64 v[14:15], v[2:3], -v[14:15]
	v_add_f64 v[0:1], v[56:57], v[0:1]
	v_add_f64 v[2:3], v[58:59], v[2:3]
	;; [unrolled: 1-line block ×4, first 2 shown]
	v_mul_f64 v[36:37], v[44:45], s[20:21]
	v_mul_f64 v[38:39], v[46:47], s[20:21]
	;; [unrolled: 1-line block ×6, first 2 shown]
	s_mov_b32 s9, 0xbfebfeb5
	v_mul_f64 v[60:61], v[4:5], s[8:9]
	v_mul_f64 v[62:63], v[6:7], s[8:9]
	s_mov_b32 s22, 0xaaaaaaaa
	s_mov_b32 s16, 0x5476071b
	;; [unrolled: 1-line block ×8, first 2 shown]
	v_fma_f64 v[48:49], v[48:49], s[22:23], v[40:41]
	v_fma_f64 v[50:51], v[50:51], s[22:23], v[42:43]
	;; [unrolled: 1-line block ×4, first 2 shown]
	v_fma_f64 v[44:45], v[52:53], s[16:17], -v[44:45]
	v_fma_f64 v[46:47], v[54:55], s[16:17], -v[46:47]
	;; [unrolled: 1-line block ×4, first 2 shown]
	v_fma_f64 v[52:53], v[12:13], s[28:29], v[56:57]
	v_fma_f64 v[54:55], v[14:15], s[28:29], v[58:59]
	s_mov_b32 s31, 0x3fd5d0dc
	s_mov_b32 s30, s28
	v_fma_f64 v[12:13], v[12:13], s[30:31], -v[60:61]
	v_fma_f64 v[14:15], v[14:15], s[30:31], -v[62:63]
	;; [unrolled: 1-line block ×4, first 2 shown]
	s_mov_b32 s24, 0x37c3f68c
	s_mov_b32 s25, 0xbfdc38aa
	v_add_f64 v[8:9], v[8:9], v[48:49]
	v_add_f64 v[10:11], v[10:11], v[50:51]
	v_fma_f64 v[64:65], v[2:3], s[24:25], v[54:55]
	v_fma_f64 v[66:67], v[0:1], s[24:25], v[52:53]
	v_add_f64 v[60:61], v[36:37], v[48:49]
	v_add_f64 v[37:38], v[38:39], v[50:51]
	v_fma_f64 v[14:15], v[2:3], s[24:25], v[14:15]
	v_fma_f64 v[12:13], v[0:1], s[24:25], v[12:13]
	;; [unrolled: 4-line block ×3, first 2 shown]
	v_add_f64 v[44:45], v[64:65], v[8:9]
	v_add_f64 v[46:47], v[10:11], -v[66:67]
	v_add_f64 v[48:49], v[14:15], v[60:61]
	v_add_f64 v[50:51], v[37:38], -v[12:13]
	v_add_f64 v[60:61], v[60:61], -v[14:15]
	v_add_f64 v[62:63], v[12:13], v[37:38]
	v_add_f64 v[52:53], v[56:57], -v[2:3]
	v_add_f64 v[54:55], v[0:1], v[58:59]
	v_add_f64 v[56:57], v[2:3], v[56:57]
	v_add_f64 v[58:59], v[58:59], -v[0:1]
	v_add_f64 v[64:65], v[8:9], -v[64:65]
	v_add_f64 v[66:67], v[66:67], v[10:11]
	v_add_u32_e32 v36, 0x5b0, v255
	s_barrier
	ds_write_b128 v223, v[40:43]
	ds_write_b128 v223, v[44:47] offset:416
	ds_write_b128 v223, v[48:51] offset:832
	;; [unrolled: 1-line block ×6, first 2 shown]
	s_and_saveexec_b64 s[34:35], s[2:3]
	s_cbranch_execz .LBB0_21
; %bb.20:
	buffer_load_dword v16, off, s[52:55], 0 offset:12 ; 4-byte Folded Reload
	buffer_load_dword v17, off, s[52:55], 0 offset:16 ; 4-byte Folded Reload
	;; [unrolled: 1-line block ×16, first 2 shown]
	v_mul_f64 v[4:5], v[235:236], v[158:159]
	v_mul_f64 v[6:7], v[243:244], v[166:167]
	v_fma_f64 v[4:5], v[233:234], v[156:157], v[4:5]
	v_fma_f64 v[6:7], v[241:242], v[164:165], v[6:7]
	s_waitcnt vmcnt(12)
	v_mul_f64 v[0:1], v[18:19], v[30:31]
	s_waitcnt vmcnt(8)
	v_mul_f64 v[2:3], v[39:40], v[102:103]
	;; [unrolled: 2-line block ×4, first 2 shown]
	v_mul_f64 v[12:13], v[39:40], v[100:101]
	v_mul_f64 v[14:15], v[18:19], v[28:29]
	;; [unrolled: 1-line block ×4, first 2 shown]
	v_fma_f64 v[0:1], v[16:17], v[28:29], v[0:1]
	v_fma_f64 v[2:3], v[37:38], v[100:101], v[2:3]
	;; [unrolled: 1-line block ×4, first 2 shown]
	v_fma_f64 v[12:13], v[37:38], v[102:103], -v[12:13]
	v_fma_f64 v[14:15], v[16:17], v[30:31], -v[14:15]
	;; [unrolled: 1-line block ×4, first 2 shown]
	v_mul_f64 v[22:23], v[243:244], v[164:165]
	v_mul_f64 v[30:31], v[235:236], v[156:157]
	v_add_f64 v[16:17], v[4:5], -v[6:7]
	v_add_f64 v[28:29], v[8:9], -v[10:11]
	;; [unrolled: 1-line block ×3, first 2 shown]
	v_add_f64 v[32:33], v[14:15], v[12:13]
	v_add_f64 v[47:48], v[0:1], v[2:3]
	;; [unrolled: 1-line block ×3, first 2 shown]
	v_fma_f64 v[22:23], v[241:242], v[166:167], -v[22:23]
	v_fma_f64 v[30:31], v[233:234], v[158:159], -v[30:31]
	v_add_f64 v[8:9], v[8:9], v[10:11]
	v_add_f64 v[39:40], v[16:17], -v[28:29]
	v_add_f64 v[45:46], v[37:38], -v[16:17]
	v_add_f64 v[0:1], v[16:17], v[28:29]
	v_add_f64 v[4:5], v[6:7], v[4:5]
	;; [unrolled: 1-line block ×3, first 2 shown]
	v_add_f64 v[18:19], v[20:21], -v[18:19]
	v_add_f64 v[43:44], v[22:23], v[30:31]
	v_add_f64 v[6:7], v[8:9], v[47:48]
	v_mul_f64 v[10:11], v[39:40], s[18:19]
	v_add_f64 v[22:23], v[30:31], -v[22:23]
	v_add_f64 v[12:13], v[14:15], -v[12:13]
	v_add_f64 v[20:21], v[47:48], -v[4:5]
	v_add_f64 v[16:17], v[43:44], v[41:42]
	v_add_f64 v[41:42], v[0:1], v[37:38]
	v_fma_f64 v[39:40], v[45:46], s[28:29], v[10:11]
	v_add_f64 v[0:1], v[32:33], -v[43:44]
	v_add_f64 v[6:7], v[4:5], v[6:7]
	v_mul_f64 v[20:21], v[20:21], s[20:21]
	v_add_f64 v[4:5], v[4:5], -v[8:9]
	v_add_f64 v[32:33], v[34:35], -v[32:33]
	v_add_f64 v[2:3], v[26:27], v[16:17]
	v_add_f64 v[26:27], v[43:44], -v[34:35]
	v_fma_f64 v[30:31], v[41:42], s[24:25], v[39:40]
	v_mul_f64 v[39:40], v[0:1], s[20:21]
	v_add_f64 v[43:44], v[22:23], -v[18:19]
	v_add_f64 v[0:1], v[24:25], v[6:7]
	v_add_f64 v[24:25], v[28:29], -v[37:38]
	v_add_f64 v[37:38], v[18:19], -v[12:13]
	;; [unrolled: 1-line block ×3, first 2 shown]
	v_add_f64 v[18:19], v[22:23], v[18:19]
	v_add_f64 v[8:9], v[8:9], -v[47:48]
	v_mul_f64 v[14:15], v[26:27], s[10:11]
	v_mul_f64 v[43:44], v[43:44], s[18:19]
	v_fma_f64 v[22:23], v[6:7], s[22:23], v[0:1]
	v_mul_f64 v[49:50], v[24:25], s[8:9]
	v_mul_f64 v[34:35], v[37:38], s[8:9]
	v_fma_f64 v[6:7], v[4:5], s[10:11], v[20:21]
	v_mul_f64 v[4:5], v[4:5], s[10:11]
	v_fma_f64 v[16:17], v[16:17], s[22:23], v[2:3]
	v_fma_f64 v[26:27], v[26:27], s[10:11], v[39:40]
	;; [unrolled: 1-line block ×3, first 2 shown]
	v_add_f64 v[12:13], v[18:19], v[12:13]
	v_fma_f64 v[18:19], v[45:46], s[30:31], -v[49:50]
	v_fma_f64 v[39:40], v[32:33], s[26:27], -v[39:40]
	;; [unrolled: 1-line block ×4, first 2 shown]
	v_add_f64 v[34:35], v[6:7], v[22:23]
	v_fma_f64 v[6:7], v[32:33], s[16:17], -v[14:15]
	v_fma_f64 v[10:11], v[24:25], s[8:9], -v[10:11]
	;; [unrolled: 1-line block ×4, first 2 shown]
	v_add_f64 v[26:27], v[26:27], v[16:17]
	v_fma_f64 v[45:46], v[12:13], s[24:25], v[47:48]
	v_fma_f64 v[24:25], v[41:42], s[24:25], v[18:19]
	v_add_f64 v[32:33], v[39:40], v[16:17]
	v_add_f64 v[20:21], v[20:21], v[22:23]
	v_fma_f64 v[28:29], v[12:13], s[24:25], v[28:29]
	v_add_f64 v[16:17], v[6:7], v[16:17]
	v_fma_f64 v[18:19], v[41:42], s[24:25], v[10:11]
	;; [unrolled: 2-line block ×3, first 2 shown]
	v_add_f64 v[6:7], v[30:31], v[26:27]
	v_add_f64 v[10:11], v[24:25], v[32:33]
	v_add_f64 v[22:23], v[32:33], -v[24:25]
	v_add_f64 v[26:27], v[26:27], -v[30:31]
	v_add_f64 v[24:25], v[45:46], v[34:35]
	v_add_f64 v[8:9], v[20:21], -v[28:29]
	v_add_f64 v[20:21], v[28:29], v[20:21]
	;; [unrolled: 2-line block ×4, first 2 shown]
	v_mul_u32_u24_e32 v28, 0xb6, v227
	v_add_f64 v[4:5], v[34:35], -v[45:46]
	v_add_u32_e32 v28, v28, v228
	v_lshl_add_u32 v28, v28, 4, v245
	ds_write_b128 v28, v[0:3]
	ds_write_b128 v28, v[24:27] offset:416
	ds_write_b128 v28, v[20:23] offset:832
	;; [unrolled: 1-line block ×6, first 2 shown]
.LBB0_21:
	s_or_b64 exec, exec, s[34:35]
	s_waitcnt lgkmcnt(0)
	s_barrier
	ds_read_b128 v[0:3], v188
	ds_read_b128 v[4:7], v188 offset:1456
	ds_read_b128 v[8:11], v188 offset:2912
	;; [unrolled: 1-line block ×7, first 2 shown]
	s_waitcnt lgkmcnt(5)
	v_mul_f64 v[41:42], v[86:87], v[10:11]
	v_mul_f64 v[43:44], v[86:87], v[8:9]
	s_waitcnt lgkmcnt(3)
	v_mul_f64 v[45:46], v[78:79], v[18:19]
	s_waitcnt lgkmcnt(1)
	v_mul_f64 v[49:50], v[82:83], v[26:27]
	ds_read_b128 v[32:35], v188 offset:11648
	ds_read_b128 v[37:40], v188 offset:13104
	v_mul_f64 v[47:48], v[78:79], v[16:17]
	v_mul_f64 v[51:52], v[82:83], v[24:25]
	s_mov_b32 s2, 0x134454ff
	v_fma_f64 v[41:42], v[84:85], v[8:9], v[41:42]
	s_waitcnt lgkmcnt(1)
	v_mul_f64 v[8:9], v[74:75], v[34:35]
	v_mul_f64 v[53:54], v[74:75], v[32:33]
	v_fma_f64 v[43:44], v[84:85], v[10:11], -v[43:44]
	v_fma_f64 v[10:11], v[76:77], v[16:17], v[45:46]
	v_fma_f64 v[16:17], v[80:81], v[24:25], v[49:50]
	v_fma_f64 v[24:25], v[80:81], v[26:27], -v[51:52]
	v_mul_f64 v[26:27], v[98:99], v[14:15]
	v_mul_f64 v[45:46], v[94:95], v[22:23]
	v_fma_f64 v[32:33], v[72:73], v[32:33], v[8:9]
	v_fma_f64 v[34:35], v[72:73], v[34:35], -v[53:54]
	v_mul_f64 v[8:9], v[98:99], v[12:13]
	v_fma_f64 v[18:19], v[76:77], v[18:19], -v[47:48]
	v_add_f64 v[51:52], v[10:11], v[16:17]
	v_add_f64 v[47:48], v[0:1], v[41:42]
	v_mul_f64 v[49:50], v[94:95], v[20:21]
	v_fma_f64 v[26:27], v[96:97], v[12:13], v[26:27]
	v_mul_f64 v[12:13], v[90:91], v[30:31]
	v_fma_f64 v[45:46], v[92:93], v[20:21], v[45:46]
	v_fma_f64 v[55:56], v[96:97], v[14:15], -v[8:9]
	v_add_f64 v[20:21], v[43:44], -v[34:35]
	v_fma_f64 v[14:15], v[51:52], -0.5, v[0:1]
	s_mov_b32 s3, 0xbfee6f0e
	v_mul_f64 v[53:54], v[90:91], v[28:29]
	v_add_f64 v[8:9], v[47:48], v[10:11]
	v_fma_f64 v[47:48], v[92:93], v[22:23], -v[49:50]
	v_fma_f64 v[28:29], v[88:89], v[28:29], v[12:13]
	s_waitcnt lgkmcnt(0)
	v_mul_f64 v[12:13], v[70:71], v[39:40]
	v_add_f64 v[51:52], v[18:19], -v[24:25]
	v_fma_f64 v[49:50], v[20:21], s[2:3], v[14:15]
	v_add_f64 v[59:60], v[41:42], v[32:33]
	s_mov_b32 s10, 0x4755a5e
	s_mov_b32 s11, 0xbfe2cf23
	;; [unrolled: 1-line block ×4, first 2 shown]
	v_fma_f64 v[30:31], v[88:89], v[30:31], -v[53:54]
	v_mul_f64 v[22:23], v[70:71], v[37:38]
	v_add_f64 v[53:54], v[41:42], -v[10:11]
	v_add_f64 v[57:58], v[32:33], -v[16:17]
	v_fma_f64 v[37:38], v[68:69], v[37:38], v[12:13]
	v_fma_f64 v[12:13], v[51:52], s[10:11], v[49:50]
	v_fma_f64 v[0:1], v[59:60], -0.5, v[0:1]
	v_fma_f64 v[14:15], v[20:21], s[18:19], v[14:15]
	v_add_f64 v[49:50], v[2:3], v[43:44]
	s_mov_b32 s17, 0x3fe2cf23
	s_mov_b32 s16, s10
	v_add_f64 v[8:9], v[8:9], v[16:17]
	v_fma_f64 v[39:40], v[68:69], v[39:40], -v[22:23]
	v_add_f64 v[22:23], v[53:54], v[57:58]
	v_fma_f64 v[57:58], v[51:52], s[18:19], v[0:1]
	v_add_f64 v[59:60], v[10:11], -v[41:42]
	v_add_f64 v[61:62], v[16:17], -v[32:33]
	v_fma_f64 v[14:15], v[51:52], s[16:17], v[14:15]
	v_add_f64 v[49:50], v[49:50], v[18:19]
	s_mov_b32 s8, 0x372fe950
	s_mov_b32 s9, 0x3fd3c6ef
	v_add_f64 v[8:9], v[8:9], v[32:33]
	v_add_f64 v[53:54], v[18:19], v[24:25]
	v_fma_f64 v[51:52], v[51:52], s[2:3], v[0:1]
	v_add_f64 v[32:33], v[41:42], -v[32:33]
	v_fma_f64 v[41:42], v[20:21], s[10:11], v[57:58]
	v_add_f64 v[57:58], v[59:60], v[61:62]
	v_fma_f64 v[0:1], v[22:23], s[8:9], v[12:13]
	v_fma_f64 v[12:13], v[22:23], s[8:9], v[14:15]
	v_add_f64 v[22:23], v[49:50], v[24:25]
	v_add_f64 v[49:50], v[43:44], v[34:35]
	v_fma_f64 v[53:54], v[53:54], -0.5, v[2:3]
	v_fma_f64 v[14:15], v[20:21], s[16:17], v[51:52]
	v_add_f64 v[59:60], v[10:11], -v[16:17]
	v_fma_f64 v[16:17], v[57:58], s[8:9], v[41:42]
	v_add_f64 v[41:42], v[45:46], v[28:29]
	v_add_f64 v[61:62], v[43:44], -v[18:19]
	v_add_f64 v[63:64], v[34:35], -v[24:25]
	v_fma_f64 v[2:3], v[49:50], -0.5, v[2:3]
	v_fma_f64 v[51:52], v[32:33], s[18:19], v[53:54]
	v_fma_f64 v[20:21], v[57:58], s[8:9], v[14:15]
	v_add_f64 v[10:11], v[22:23], v[34:35]
	v_add_f64 v[22:23], v[4:5], v[26:27]
	v_fma_f64 v[41:42], v[41:42], -0.5, v[4:5]
	v_add_f64 v[49:50], v[55:56], -v[39:40]
	v_fma_f64 v[53:54], v[32:33], s[2:3], v[53:54]
	v_fma_f64 v[57:58], v[59:60], s[2:3], v[2:3]
	v_add_f64 v[18:19], v[18:19], -v[43:44]
	v_add_f64 v[24:25], v[24:25], -v[34:35]
	v_fma_f64 v[2:3], v[59:60], s[18:19], v[2:3]
	v_fma_f64 v[14:15], v[59:60], s[16:17], v[51:52]
	v_add_f64 v[51:52], v[61:62], v[63:64]
	v_add_f64 v[22:23], v[22:23], v[45:46]
	v_fma_f64 v[34:35], v[49:50], s[2:3], v[41:42]
	v_add_f64 v[43:44], v[47:48], -v[30:31]
	v_add_f64 v[61:62], v[26:27], -v[45:46]
	v_add_f64 v[63:64], v[37:38], -v[28:29]
	v_fma_f64 v[53:54], v[59:60], s[10:11], v[53:54]
	v_add_f64 v[59:60], v[26:27], v[37:38]
	v_fma_f64 v[57:58], v[32:33], s[16:17], v[57:58]
	v_add_f64 v[24:25], v[18:19], v[24:25]
	;; [unrolled: 2-line block ×4, first 2 shown]
	v_fma_f64 v[2:3], v[51:52], s[8:9], v[14:15]
	v_fma_f64 v[59:60], v[59:60], -0.5, v[4:5]
	v_fma_f64 v[14:15], v[51:52], s[8:9], v[53:54]
	v_add_f64 v[53:54], v[55:56], v[39:40]
	v_fma_f64 v[22:23], v[24:25], s[8:9], v[32:33]
	v_add_f64 v[32:33], v[47:48], v[30:31]
	v_add_f64 v[63:64], v[6:7], v[55:56]
	v_fma_f64 v[18:19], v[24:25], s[8:9], v[57:58]
	v_fma_f64 v[24:25], v[61:62], s[8:9], v[34:35]
	;; [unrolled: 1-line block ×4, first 2 shown]
	v_add_f64 v[51:52], v[45:46], -v[26:27]
	v_add_f64 v[57:58], v[28:29], -v[37:38]
	v_fma_f64 v[32:33], v[32:33], -0.5, v[6:7]
	v_add_f64 v[26:27], v[26:27], -v[37:38]
	v_add_f64 v[28:29], v[45:46], -v[28:29]
	v_fma_f64 v[6:7], v[53:54], -0.5, v[6:7]
	v_add_f64 v[45:46], v[63:64], v[47:48]
	v_add_f64 v[4:5], v[65:66], v[37:38]
	v_fma_f64 v[34:35], v[43:44], s[16:17], v[34:35]
	v_fma_f64 v[37:38], v[49:50], s[10:11], v[41:42]
	v_add_f64 v[41:42], v[51:52], v[57:58]
	v_fma_f64 v[43:44], v[43:44], s[2:3], v[59:60]
	v_fma_f64 v[51:52], v[26:27], s[18:19], v[32:33]
	v_add_f64 v[53:54], v[55:56], -v[47:48]
	v_add_f64 v[57:58], v[39:40], -v[30:31]
	v_fma_f64 v[59:60], v[28:29], s[2:3], v[6:7]
	v_add_f64 v[47:48], v[47:48], -v[55:56]
	v_add_f64 v[55:56], v[30:31], -v[39:40]
	v_fma_f64 v[32:33], v[26:27], s[2:3], v[32:33]
	v_fma_f64 v[6:7], v[28:29], s[18:19], v[6:7]
	v_add_f64 v[30:31], v[45:46], v[30:31]
	v_fma_f64 v[43:44], v[49:50], s[16:17], v[43:44]
	v_fma_f64 v[45:46], v[28:29], s[16:17], v[51:52]
	v_add_f64 v[49:50], v[53:54], v[57:58]
	v_fma_f64 v[53:54], v[26:27], s[16:17], v[59:60]
	v_add_f64 v[47:48], v[47:48], v[55:56]
	v_fma_f64 v[51:52], v[28:29], s[10:11], v[32:33]
	v_fma_f64 v[55:56], v[26:27], s[10:11], v[6:7]
	v_add_f64 v[6:7], v[30:31], v[39:40]
	v_fma_f64 v[28:29], v[61:62], s[8:9], v[34:35]
	v_fma_f64 v[32:33], v[41:42], s[8:9], v[37:38]
	;; [unrolled: 1-line block ×7, first 2 shown]
	ds_write_b128 v255, v[8:11]
	ds_write_b128 v255, v[0:3] offset:2912
	ds_write_b128 v255, v[16:19] offset:5824
	;; [unrolled: 1-line block ×9, first 2 shown]
	s_waitcnt lgkmcnt(0)
	s_barrier
	s_and_b64 exec, exec, s[0:1]
	s_cbranch_execz .LBB0_23
; %bb.22:
	global_load_dwordx4 v[0:3], v224, s[14:15]
	global_load_dwordx4 v[4:7], v224, s[14:15] offset:1120
	global_load_dwordx4 v[8:11], v224, s[14:15] offset:2240
	;; [unrolled: 1-line block ×3, first 2 shown]
	v_mov_b32_e32 v16, s15
	v_add_co_u32_e32 v52, vcc, s14, v224
	s_movk_i32 s2, 0x1000
	v_addc_co_u32_e32 v53, vcc, 0, v16, vcc
	v_add_co_u32_e32 v64, vcc, s2, v52
	v_addc_co_u32_e32 v65, vcc, 0, v53, vcc
	global_load_dwordx4 v[16:19], v[64:65], off offset:384
	ds_read_b128 v[20:23], v255
	ds_read_b128 v[24:27], v255 offset:1120
	ds_read_b128 v[28:31], v255 offset:2240
	;; [unrolled: 1-line block ×3, first 2 shown]
	global_load_dwordx4 v[36:39], v[64:65], off offset:1504
	ds_read_b128 v[40:43], v255 offset:4480
	ds_read_b128 v[44:47], v255 offset:5600
	global_load_dwordx4 v[48:51], v[64:65], off offset:2624
	v_mad_u64_u32 v[74:75], s[2:3], s4, v250, 0
	v_mad_u64_u32 v[72:73], s[0:1], s6, v249, 0
	s_mul_hi_u32 s6, s4, 0x460
	s_mul_i32 s2, s4, 0x460
	s_movk_i32 s4, 0x2000
	v_add_co_u32_e32 v76, vcc, s4, v52
	s_movk_i32 s8, 0x3000
	v_addc_co_u32_e32 v77, vcc, 0, v53, vcc
	v_add_co_u32_e32 v78, vcc, s8, v52
	v_addc_co_u32_e32 v79, vcc, 0, v53, vcc
	global_load_dwordx4 v[52:55], v[64:65], off offset:3744
	global_load_dwordx4 v[56:59], v[76:77], off offset:768
	;; [unrolled: 1-line block ×3, first 2 shown]
	s_mul_i32 s3, s5, 0x460
	v_mov_b32_e32 v64, v73
	v_mov_b32_e32 v65, v75
	s_add_i32 s3, s6, s3
	v_mad_u64_u32 v[80:81], s[6:7], s7, v249, v[64:65]
	v_mad_u64_u32 v[81:82], s[4:5], s5, v250, v[65:66]
	global_load_dwordx4 v[64:67], v[76:77], off offset:3008
	global_load_dwordx4 v[68:71], v[78:79], off offset:32
	v_mov_b32_e32 v73, v80
	v_lshlrev_b64 v[72:73], 4, v[72:73]
	v_mov_b32_e32 v75, v81
	v_mov_b32_e32 v83, s13
	v_add_co_u32_e32 v72, vcc, s12, v72
	v_addc_co_u32_e32 v73, vcc, v83, v73, vcc
	v_lshlrev_b64 v[74:75], 4, v[74:75]
	v_mov_b32_e32 v84, s3
	v_add_co_u32_e32 v72, vcc, v72, v74
	v_addc_co_u32_e32 v73, vcc, v73, v75, vcc
	v_add_co_u32_e32 v74, vcc, s2, v72
	v_addc_co_u32_e32 v75, vcc, v73, v84, vcc
	s_mov_b32 s0, 0x12012012
	s_mov_b32 s1, 0x3f520120
	v_mov_b32_e32 v86, s3
	s_waitcnt vmcnt(11) lgkmcnt(5)
	v_mul_f64 v[76:77], v[22:23], v[2:3]
	v_mul_f64 v[2:3], v[20:21], v[2:3]
	s_waitcnt vmcnt(10) lgkmcnt(4)
	v_mul_f64 v[80:81], v[26:27], v[6:7]
	v_mul_f64 v[6:7], v[24:25], v[6:7]
	;; [unrolled: 3-line block ×4, first 2 shown]
	v_fma_f64 v[20:21], v[20:21], v[0:1], v[76:77]
	v_fma_f64 v[2:3], v[0:1], v[22:23], -v[2:3]
	v_fma_f64 v[22:23], v[24:25], v[4:5], v[80:81]
	v_fma_f64 v[6:7], v[4:5], v[26:27], -v[6:7]
	;; [unrolled: 2-line block ×4, first 2 shown]
	v_mul_f64 v[0:1], v[20:21], s[0:1]
	v_mul_f64 v[2:3], v[2:3], s[0:1]
	;; [unrolled: 1-line block ×3, first 2 shown]
	s_waitcnt vmcnt(7) lgkmcnt(1)
	v_mul_f64 v[22:23], v[42:43], v[18:19]
	v_mul_f64 v[18:19], v[40:41], v[18:19]
	;; [unrolled: 1-line block ×5, first 2 shown]
	v_add_co_u32_e32 v20, vcc, s2, v74
	v_addc_co_u32_e32 v21, vcc, v75, v86, vcc
	v_mul_f64 v[12:13], v[26:27], s[0:1]
	global_store_dwordx4 v[72:73], v[0:3], off
	global_store_dwordx4 v[74:75], v[4:7], off
	;; [unrolled: 1-line block ×3, first 2 shown]
	v_mul_f64 v[14:15], v[14:15], s[0:1]
	v_fma_f64 v[0:1], v[40:41], v[16:17], v[22:23]
	v_fma_f64 v[2:3], v[16:17], v[42:43], -v[18:19]
	s_waitcnt vmcnt(9) lgkmcnt(0)
	v_mul_f64 v[8:9], v[46:47], v[38:39]
	v_mul_f64 v[10:11], v[44:45], v[38:39]
	v_mov_b32_e32 v4, s3
	v_add_co_u32_e32 v16, vcc, s2, v20
	v_addc_co_u32_e32 v17, vcc, v21, v4, vcc
	ds_read_b128 v[4:7], v255 offset:6720
	global_store_dwordx4 v[16:17], v[12:15], off
	v_mul_f64 v[0:1], v[0:1], s[0:1]
	v_mul_f64 v[2:3], v[2:3], s[0:1]
	v_fma_f64 v[12:13], v[44:45], v[36:37], v[8:9]
	v_fma_f64 v[14:15], v[36:37], v[46:47], -v[10:11]
	ds_read_b128 v[8:11], v255 offset:7840
	s_waitcnt vmcnt(9) lgkmcnt(1)
	v_mul_f64 v[18:19], v[6:7], v[50:51]
	v_mul_f64 v[20:21], v[4:5], v[50:51]
	v_mov_b32_e32 v22, s3
	v_add_co_u32_e32 v16, vcc, s2, v16
	v_addc_co_u32_e32 v17, vcc, v17, v22, vcc
	global_store_dwordx4 v[16:17], v[0:3], off
	v_fma_f64 v[4:5], v[4:5], v[48:49], v[18:19]
	v_mul_f64 v[0:1], v[12:13], s[0:1]
	v_mul_f64 v[2:3], v[14:15], s[0:1]
	v_fma_f64 v[6:7], v[48:49], v[6:7], -v[20:21]
	s_waitcnt vmcnt(9) lgkmcnt(0)
	v_mul_f64 v[12:13], v[10:11], v[54:55]
	v_mul_f64 v[14:15], v[8:9], v[54:55]
	v_add_co_u32_e32 v16, vcc, s2, v16
	v_addc_co_u32_e32 v17, vcc, v17, v22, vcc
	global_store_dwordx4 v[16:17], v[0:3], off
	v_add_co_u32_e32 v16, vcc, s2, v16
	v_mul_f64 v[0:1], v[4:5], s[0:1]
	v_mul_f64 v[2:3], v[6:7], s[0:1]
	ds_read_b128 v[4:7], v255 offset:8960
	v_fma_f64 v[12:13], v[8:9], v[52:53], v[12:13]
	v_fma_f64 v[14:15], v[52:53], v[10:11], -v[14:15]
	ds_read_b128 v[8:11], v255 offset:10080
	v_addc_co_u32_e32 v17, vcc, v17, v22, vcc
	s_waitcnt vmcnt(9) lgkmcnt(1)
	v_mul_f64 v[18:19], v[6:7], v[58:59]
	v_mul_f64 v[20:21], v[4:5], v[58:59]
	global_store_dwordx4 v[16:17], v[0:3], off
	v_add_co_u32_e32 v16, vcc, s2, v16
	v_mul_f64 v[0:1], v[12:13], s[0:1]
	v_mul_f64 v[2:3], v[14:15], s[0:1]
	s_waitcnt vmcnt(9) lgkmcnt(0)
	v_mul_f64 v[12:13], v[10:11], v[62:63]
	v_fma_f64 v[4:5], v[4:5], v[56:57], v[18:19]
	v_fma_f64 v[6:7], v[56:57], v[6:7], -v[20:21]
	v_mul_f64 v[14:15], v[8:9], v[62:63]
	v_addc_co_u32_e32 v17, vcc, v17, v22, vcc
	v_mov_b32_e32 v18, s3
	global_store_dwordx4 v[16:17], v[0:3], off
	v_fma_f64 v[12:13], v[8:9], v[60:61], v[12:13]
	v_mul_f64 v[0:1], v[4:5], s[0:1]
	v_mul_f64 v[2:3], v[6:7], s[0:1]
	v_fma_f64 v[14:15], v[60:61], v[10:11], -v[14:15]
	ds_read_b128 v[4:7], v255 offset:11200
	ds_read_b128 v[8:11], v255 offset:12320
	v_add_co_u32_e32 v16, vcc, s2, v16
	v_addc_co_u32_e32 v17, vcc, v17, v18, vcc
	s_waitcnt vmcnt(9) lgkmcnt(1)
	v_mul_f64 v[18:19], v[6:7], v[66:67]
	v_mul_f64 v[20:21], v[4:5], v[66:67]
	s_waitcnt vmcnt(8) lgkmcnt(0)
	v_mul_f64 v[22:23], v[10:11], v[70:71]
	v_mul_f64 v[24:25], v[8:9], v[70:71]
	global_store_dwordx4 v[16:17], v[0:3], off
	v_fma_f64 v[4:5], v[4:5], v[64:65], v[18:19]
	v_mul_f64 v[0:1], v[12:13], s[0:1]
	v_mul_f64 v[2:3], v[14:15], s[0:1]
	v_fma_f64 v[6:7], v[64:65], v[6:7], -v[20:21]
	v_fma_f64 v[8:9], v[8:9], v[68:69], v[22:23]
	v_fma_f64 v[10:11], v[68:69], v[10:11], -v[24:25]
	v_mov_b32_e32 v13, s3
	v_add_co_u32_e32 v12, vcc, s2, v16
	v_addc_co_u32_e32 v13, vcc, v17, v13, vcc
	global_store_dwordx4 v[12:13], v[0:3], off
	v_mov_b32_e32 v14, s3
	v_mul_f64 v[0:1], v[4:5], s[0:1]
	v_mul_f64 v[2:3], v[6:7], s[0:1]
	v_mul_f64 v[4:5], v[8:9], s[0:1]
	v_mul_f64 v[6:7], v[10:11], s[0:1]
	v_add_co_u32_e32 v8, vcc, s2, v12
	v_addc_co_u32_e32 v9, vcc, v13, v14, vcc
	global_store_dwordx4 v[8:9], v[0:3], off
	s_nop 0
	v_mov_b32_e32 v0, s3
	v_add_co_u32_e32 v8, vcc, s2, v8
	v_addc_co_u32_e32 v9, vcc, v9, v0, vcc
	global_store_dwordx4 v[8:9], v[4:7], off
	global_load_dwordx4 v[0:3], v[78:79], off offset:1152
	ds_read_b128 v[4:7], v255 offset:13440
	s_waitcnt vmcnt(0) lgkmcnt(0)
	v_mul_f64 v[10:11], v[6:7], v[2:3]
	v_mul_f64 v[2:3], v[4:5], v[2:3]
	v_fma_f64 v[4:5], v[4:5], v[0:1], v[10:11]
	v_fma_f64 v[2:3], v[0:1], v[6:7], -v[2:3]
	v_mul_f64 v[0:1], v[4:5], s[0:1]
	v_mul_f64 v[2:3], v[2:3], s[0:1]
	v_mov_b32_e32 v5, s3
	v_add_co_u32_e32 v4, vcc, s2, v8
	v_addc_co_u32_e32 v5, vcc, v9, v5, vcc
	global_store_dwordx4 v[4:5], v[0:3], off
.LBB0_23:
	s_endpgm
	.section	.rodata,"a",@progbits
	.p2align	6, 0x0
	.amdhsa_kernel bluestein_single_back_len910_dim1_dp_op_CI_CI
		.amdhsa_group_segment_fixed_size 29120
		.amdhsa_private_segment_fixed_size 444
		.amdhsa_kernarg_size 104
		.amdhsa_user_sgpr_count 6
		.amdhsa_user_sgpr_private_segment_buffer 1
		.amdhsa_user_sgpr_dispatch_ptr 0
		.amdhsa_user_sgpr_queue_ptr 0
		.amdhsa_user_sgpr_kernarg_segment_ptr 1
		.amdhsa_user_sgpr_dispatch_id 0
		.amdhsa_user_sgpr_flat_scratch_init 0
		.amdhsa_user_sgpr_private_segment_size 0
		.amdhsa_uses_dynamic_stack 0
		.amdhsa_system_sgpr_private_segment_wavefront_offset 1
		.amdhsa_system_sgpr_workgroup_id_x 1
		.amdhsa_system_sgpr_workgroup_id_y 0
		.amdhsa_system_sgpr_workgroup_id_z 0
		.amdhsa_system_sgpr_workgroup_info 0
		.amdhsa_system_vgpr_workitem_id 0
		.amdhsa_next_free_vgpr 256
		.amdhsa_next_free_sgpr 56
		.amdhsa_reserve_vcc 1
		.amdhsa_reserve_flat_scratch 0
		.amdhsa_float_round_mode_32 0
		.amdhsa_float_round_mode_16_64 0
		.amdhsa_float_denorm_mode_32 3
		.amdhsa_float_denorm_mode_16_64 3
		.amdhsa_dx10_clamp 1
		.amdhsa_ieee_mode 1
		.amdhsa_fp16_overflow 0
		.amdhsa_exception_fp_ieee_invalid_op 0
		.amdhsa_exception_fp_denorm_src 0
		.amdhsa_exception_fp_ieee_div_zero 0
		.amdhsa_exception_fp_ieee_overflow 0
		.amdhsa_exception_fp_ieee_underflow 0
		.amdhsa_exception_fp_ieee_inexact 0
		.amdhsa_exception_int_div_zero 0
	.end_amdhsa_kernel
	.text
.Lfunc_end0:
	.size	bluestein_single_back_len910_dim1_dp_op_CI_CI, .Lfunc_end0-bluestein_single_back_len910_dim1_dp_op_CI_CI
                                        ; -- End function
	.section	.AMDGPU.csdata,"",@progbits
; Kernel info:
; codeLenInByte = 22496
; NumSgprs: 60
; NumVgprs: 256
; ScratchSize: 444
; MemoryBound: 0
; FloatMode: 240
; IeeeMode: 1
; LDSByteSize: 29120 bytes/workgroup (compile time only)
; SGPRBlocks: 7
; VGPRBlocks: 63
; NumSGPRsForWavesPerEU: 60
; NumVGPRsForWavesPerEU: 256
; Occupancy: 1
; WaveLimiterHint : 1
; COMPUTE_PGM_RSRC2:SCRATCH_EN: 1
; COMPUTE_PGM_RSRC2:USER_SGPR: 6
; COMPUTE_PGM_RSRC2:TRAP_HANDLER: 0
; COMPUTE_PGM_RSRC2:TGID_X_EN: 1
; COMPUTE_PGM_RSRC2:TGID_Y_EN: 0
; COMPUTE_PGM_RSRC2:TGID_Z_EN: 0
; COMPUTE_PGM_RSRC2:TIDIG_COMP_CNT: 0
	.type	__hip_cuid_1d947686e44391ef,@object ; @__hip_cuid_1d947686e44391ef
	.section	.bss,"aw",@nobits
	.globl	__hip_cuid_1d947686e44391ef
__hip_cuid_1d947686e44391ef:
	.byte	0                               ; 0x0
	.size	__hip_cuid_1d947686e44391ef, 1

	.ident	"AMD clang version 19.0.0git (https://github.com/RadeonOpenCompute/llvm-project roc-6.4.0 25133 c7fe45cf4b819c5991fe208aaa96edf142730f1d)"
	.section	".note.GNU-stack","",@progbits
	.addrsig
	.addrsig_sym __hip_cuid_1d947686e44391ef
	.amdgpu_metadata
---
amdhsa.kernels:
  - .args:
      - .actual_access:  read_only
        .address_space:  global
        .offset:         0
        .size:           8
        .value_kind:     global_buffer
      - .actual_access:  read_only
        .address_space:  global
        .offset:         8
        .size:           8
        .value_kind:     global_buffer
      - .actual_access:  read_only
        .address_space:  global
        .offset:         16
        .size:           8
        .value_kind:     global_buffer
      - .actual_access:  read_only
        .address_space:  global
        .offset:         24
        .size:           8
        .value_kind:     global_buffer
      - .actual_access:  read_only
        .address_space:  global
        .offset:         32
        .size:           8
        .value_kind:     global_buffer
      - .offset:         40
        .size:           8
        .value_kind:     by_value
      - .address_space:  global
        .offset:         48
        .size:           8
        .value_kind:     global_buffer
      - .address_space:  global
        .offset:         56
        .size:           8
        .value_kind:     global_buffer
      - .address_space:  global
        .offset:         64
        .size:           8
        .value_kind:     global_buffer
      - .address_space:  global
        .offset:         72
        .size:           8
        .value_kind:     global_buffer
      - .offset:         80
        .size:           4
        .value_kind:     by_value
      - .address_space:  global
        .offset:         88
        .size:           8
        .value_kind:     global_buffer
      - .address_space:  global
        .offset:         96
        .size:           8
        .value_kind:     global_buffer
    .group_segment_fixed_size: 29120
    .kernarg_segment_align: 8
    .kernarg_segment_size: 104
    .language:       OpenCL C
    .language_version:
      - 2
      - 0
    .max_flat_workgroup_size: 182
    .name:           bluestein_single_back_len910_dim1_dp_op_CI_CI
    .private_segment_fixed_size: 444
    .sgpr_count:     60
    .sgpr_spill_count: 0
    .symbol:         bluestein_single_back_len910_dim1_dp_op_CI_CI.kd
    .uniform_work_group_size: 1
    .uses_dynamic_stack: false
    .vgpr_count:     256
    .vgpr_spill_count: 110
    .wavefront_size: 64
amdhsa.target:   amdgcn-amd-amdhsa--gfx906
amdhsa.version:
  - 1
  - 2
...

	.end_amdgpu_metadata
